;; amdgpu-corpus repo=pytorch/pytorch kind=compiled arch=gfx1100 opt=O3
	.text
	.amdgcn_target "amdgcn-amd-amdhsa--gfx1100"
	.amdhsa_code_object_version 6
	.section	.text._ZN2at6native12_GLOBAL__N_125multi_tensor_apply_kernelINS1_32FusedOptimizerTensorListMetadataILi5EEENS1_22FusedAdamMathFunctorMPIfffN3c108BFloat16ES7_S7_Li5ELNS0_9ADAM_MODEE1ELb1EEEJPKfdddddbSB_SB_EEEvT_T0_DpT1_,"axG",@progbits,_ZN2at6native12_GLOBAL__N_125multi_tensor_apply_kernelINS1_32FusedOptimizerTensorListMetadataILi5EEENS1_22FusedAdamMathFunctorMPIfffN3c108BFloat16ES7_S7_Li5ELNS0_9ADAM_MODEE1ELb1EEEJPKfdddddbSB_SB_EEEvT_T0_DpT1_,comdat
	.globl	_ZN2at6native12_GLOBAL__N_125multi_tensor_apply_kernelINS1_32FusedOptimizerTensorListMetadataILi5EEENS1_22FusedAdamMathFunctorMPIfffN3c108BFloat16ES7_S7_Li5ELNS0_9ADAM_MODEE1ELb1EEEJPKfdddddbSB_SB_EEEvT_T0_DpT1_ ; -- Begin function _ZN2at6native12_GLOBAL__N_125multi_tensor_apply_kernelINS1_32FusedOptimizerTensorListMetadataILi5EEENS1_22FusedAdamMathFunctorMPIfffN3c108BFloat16ES7_S7_Li5ELNS0_9ADAM_MODEE1ELb1EEEJPKfdddddbSB_SB_EEEvT_T0_DpT1_
	.p2align	8
	.type	_ZN2at6native12_GLOBAL__N_125multi_tensor_apply_kernelINS1_32FusedOptimizerTensorListMetadataILi5EEENS1_22FusedAdamMathFunctorMPIfffN3c108BFloat16ES7_S7_Li5ELNS0_9ADAM_MODEE1ELb1EEEJPKfdddddbSB_SB_EEEvT_T0_DpT1_,@function
_ZN2at6native12_GLOBAL__N_125multi_tensor_apply_kernelINS1_32FusedOptimizerTensorListMetadataILi5EEENS1_22FusedAdamMathFunctorMPIfffN3c108BFloat16ES7_S7_Li5ELNS0_9ADAM_MODEE1ELb1EEEJPKfdddddbSB_SB_EEEvT_T0_DpT1_: ; @_ZN2at6native12_GLOBAL__N_125multi_tensor_apply_kernelINS1_32FusedOptimizerTensorListMetadataILi5EEENS1_22FusedAdamMathFunctorMPIfffN3c108BFloat16ES7_S7_Li5ELNS0_9ADAM_MODEE1ELb1EEEJPKfdddddbSB_SB_EEEvT_T0_DpT1_
; %bb.0:
	v_mov_b32_e32 v1, s15
	s_load_b256 s[52:59], s[0:1], 0xce0
	s_add_u32 s2, s0, s15
	s_mul_hi_u32 s3, s15, 3
	s_mul_i32 s15, s15, 3
	global_load_u8 v1, v1, s[0:1] offset:1680
	s_addc_u32 s5, s1, 0
	s_add_u32 s2, s2, s15
	s_addc_u32 s3, s5, s3
	s_mov_b32 s5, 0
	s_waitcnt lgkmcnt(0)
	s_cmp_eq_u64 s[52:53], 0
	s_waitcnt vmcnt(0)
	v_readfirstlane_b32 s4, v1
	s_cbranch_scc1 .LBB0_84
; %bb.1:
	s_load_b32 s6, s[52:53], 0x0
	s_waitcnt lgkmcnt(0)
	v_mov_b32_e32 v14, s6
	s_and_not1_b32 vcc_lo, exec_lo, s5
	s_cbranch_vccnz .LBB0_3
.LBB0_2:
	v_cvt_f32_f64_e32 v14, s[54:55]
.LBB0_3:
	s_load_b128 s[12:15], s[0:1], 0xd18
	s_waitcnt lgkmcnt(0)
	s_cmp_eq_u64 s[14:15], 0
	s_cselect_b32 s5, -1, 0
	s_delay_alu instid0(SALU_CYCLE_1)
	s_and_b32 vcc_lo, exec_lo, s5
	s_cbranch_vccnz .LBB0_5
; %bb.4:
	s_load_b32 s5, s[14:15], 0x0
	s_waitcnt lgkmcnt(0)
	v_cmp_neq_f32_e64 s5, s5, 1.0
.LBB0_5:
	s_delay_alu instid0(VALU_DEP_1)
	s_and_not1_b32 vcc_lo, exec_lo, s5
	s_cbranch_vccnz .LBB0_100
; %bb.6:
	s_and_b32 s4, s4, 0xff
                                        ; implicit-def: $vgpr82 : SGPR spill to VGPR lane
	s_mov_b32 s36, 0
	s_lshl_b32 s7, s4, 3
	s_clause 0x6
	s_load_b64 s[4:5], s[0:1], s7 offset:0x5a0
	s_load_b32 s6, s[2:3], 0x7d0
	s_load_b64 s[14:15], s[0:1], s7 offset:0x0
	s_load_b64 s[8:9], s[0:1], s7 offset:0xf0
	;; [unrolled: 1-line block ×5, first 2 shown]
	s_add_u32 s38, s0, s7
	s_addc_u32 s39, s1, 0
	s_waitcnt lgkmcnt(0)
	s_ashr_i32 s7, s6, 31
	s_delay_alu instid0(SALU_CYCLE_1)
	s_lshl_b64 s[10:11], s[6:7], 18
	s_lshl_b64 s[40:41], s[6:7], 16
	s_add_u32 s26, s14, s10
	v_writelane_b32 v82, s2, 0
	v_writelane_b32 v82, s3, 1
	s_load_b32 s2, s[4:5], 0x0
	s_mov_b32 s5, s36
	s_mov_b32 s3, 0
	v_writelane_b32 v82, s14, 2
	s_addc_u32 s27, s15, s11
	s_add_u32 s33, s8, s10
	v_writelane_b32 v82, s15, 3
	v_writelane_b32 v82, s8, 4
	s_addc_u32 s104, s9, s11
	s_lshl_b64 s[14:15], s[6:7], 17
	s_delay_alu instid0(SALU_CYCLE_1)
	s_add_u32 vcc_hi, s16, s14
	v_writelane_b32 v82, s9, 5
	v_writelane_b32 v82, s16, 6
	s_addc_u32 s28, s17, s15
	s_add_u32 s29, s18, s14
	v_writelane_b32 v82, s17, 7
	v_writelane_b32 v82, s18, 8
	s_addc_u32 s30, s19, s15
	s_and_b32 s4, s26, 15
	s_delay_alu instid0(SALU_CYCLE_1)
	s_cmp_lg_u64 s[4:5], 0
	v_writelane_b32 v82, s19, 9
	s_cbranch_scc1 .LBB0_8
; %bb.7:
	s_mov_b32 s5, 0
	s_and_b32 s4, s33, 15
	s_and_b32 s6, vcc_hi, 7
	s_mov_b32 s7, s5
	s_delay_alu instid0(SALU_CYCLE_1) | instskip(SKIP_1) | instid1(SALU_CYCLE_1)
	s_or_b64 s[6:7], s[4:5], s[6:7]
	s_and_b32 s4, s29, 7
	s_or_b64 s[4:5], s[6:7], s[4:5]
	s_delay_alu instid0(SALU_CYCLE_1)
	s_cmp_eq_u64 s[4:5], 0
	s_cselect_b32 s3, -1, 0
.LBB0_8:
	s_waitcnt lgkmcnt(0)
	v_cvt_f64_f32_e32 v[1:2], s2
	v_cmp_eq_f64_e64 s18, s[56:57], 1.0
	v_writelane_b32 v82, s3, 10
	s_mov_b32 s8, 0x55555555
	s_mov_b32 s9, 0x3fe55555
	s_mov_b32 s50, 0x968915a9
	s_mov_b32 s60, 0x4222de17
	s_mov_b32 s51, 0x3fba6564
	s_mov_b32 s61, 0x3fbdee67
	s_mov_b32 s22, 0x47e6c9c2
	s_mov_b32 s23, 0x3fc110ef
	s_mov_b32 s52, 0xcfa74449
	s_mov_b32 s53, 0x3fc3b13b
	s_mov_b32 s54, 0x71bf3c30
	s_mov_b32 s55, 0x3fc745d1
	s_mov_b32 s64, 0x1c7792ce
	s_mov_b32 s65, 0x3fcc71c7
	s_mov_b32 s66, 0x924920da
	s_mov_b32 s67, 0x3fd24924
	s_mov_b32 s68, 0x9999999c
	s_mov_b32 s69, 0x3fd99999
	s_mov_b32 s71, 0xbfe55555
	s_mov_b32 s70, s8
	s_mov_b32 s72, 0xd5df274d
	s_mov_b32 s73, 0x3c8543b0
	s_mov_b32 s46, 0xfefa39ef
	s_mov_b32 s47, 0x3fe62e42
	s_mov_b32 s48, 0x3b39803f
	s_mov_b32 s49, 0x3c7abc9e
	s_mov_b32 s74, 0x652b82fe
	s_mov_b32 s75, 0x3ff71547
	s_mov_b32 s77, 0xbfe62e42
	s_mov_b32 s76, s46
	s_mov_b32 s79, 0xbc7abc9e
	s_mov_b32 s78, s48
	s_mov_b32 s80, 0xfca7ab0c
	s_mov_b32 s82, 0x6a5dcb37
	s_mov_b32 s81, 0x3e928af3
	v_readfirstlane_b32 s24, v2
	v_readfirstlane_b32 s17, v1
	s_and_b32 s2, s18, exec_lo
	s_mov_b32 s83, 0x3e5ade15
	s_mov_b32 s84, 0x623fde64
	s_cselect_b32 s43, 0x3ff00000, s24
	s_cselect_b32 s42, 0, s17
	s_mov_b32 s85, 0x3ec71dee
	v_cmp_eq_f64_e64 s2, s[42:43], 0
	s_mov_b32 s86, 0x7c89e6b0
	s_mov_b32 s87, 0x3efa0199
	;; [unrolled: 1-line block ×14, first 2 shown]
	v_cmp_lt_f64_e64 s25, s[42:43], 0
	s_delay_alu instid0(VALU_DEP_2)
	s_and_b32 s3, s2, exec_lo
	s_cselect_b32 s45, 0x3ff00000, s57
	s_cselect_b32 s44, 0, s56
	s_and_b32 s3, s57, 0x7fffffff
	s_and_b32 s2, s2, exec_lo
	s_cselect_b32 s7, 0x3ff00000, s3
	s_cselect_b32 s6, 0, s56
	s_delay_alu instid0(SALU_CYCLE_1) | instskip(SKIP_1) | instid1(VALU_DEP_2)
	v_frexp_mant_f64_e32 v[1:2], s[6:7]
	v_cmp_eq_f64_e64 s19, s[6:7], 1.0
	v_cmp_gt_f64_e32 vcc_lo, s[8:9], v[1:2]
	s_and_b32 s2, vcc_lo, exec_lo
	s_cselect_b32 s37, 2.0, 0x3ff00000
	s_mov_b32 s2, 0x3abe935a
	v_mul_f64 v[1:2], v[1:2], s[36:37]
	s_mov_b32 s3, 0x3fbe25e4
	s_delay_alu instid0(VALU_DEP_1) | instskip(SKIP_1) | instid1(VALU_DEP_2)
	v_add_f64 v[3:4], v[1:2], 1.0
	v_add_f64 v[9:10], v[1:2], -1.0
	v_rcp_f64_e32 v[5:6], v[3:4]
	s_waitcnt_depctr 0xfff
	v_fma_f64 v[7:8], -v[3:4], v[5:6], 1.0
	s_delay_alu instid0(VALU_DEP_1) | instskip(NEXT) | instid1(VALU_DEP_1)
	v_fma_f64 v[5:6], v[7:8], v[5:6], v[5:6]
	v_fma_f64 v[7:8], -v[3:4], v[5:6], 1.0
	s_delay_alu instid0(VALU_DEP_1) | instskip(SKIP_1) | instid1(VALU_DEP_2)
	v_fma_f64 v[5:6], v[7:8], v[5:6], v[5:6]
	v_add_f64 v[7:8], v[3:4], -1.0
	v_mul_f64 v[11:12], v[9:10], v[5:6]
	s_delay_alu instid0(VALU_DEP_2) | instskip(NEXT) | instid1(VALU_DEP_2)
	v_add_f64 v[1:2], v[1:2], -v[7:8]
	v_mul_f64 v[7:8], v[3:4], v[11:12]
	s_delay_alu instid0(VALU_DEP_1) | instskip(NEXT) | instid1(VALU_DEP_1)
	v_fma_f64 v[3:4], v[11:12], v[3:4], -v[7:8]
	v_fma_f64 v[1:2], v[11:12], v[1:2], v[3:4]
	s_delay_alu instid0(VALU_DEP_1) | instskip(NEXT) | instid1(VALU_DEP_1)
	v_add_f64 v[3:4], v[7:8], v[1:2]
	v_add_f64 v[7:8], v[3:4], -v[7:8]
	s_delay_alu instid0(VALU_DEP_1) | instskip(SKIP_1) | instid1(VALU_DEP_1)
	v_add_f64 v[1:2], v[7:8], -v[1:2]
	v_add_f64 v[7:8], v[9:10], -v[3:4]
	;; [unrolled: 1-line block ×3, first 2 shown]
	s_delay_alu instid0(VALU_DEP_1) | instskip(NEXT) | instid1(VALU_DEP_1)
	v_add_f64 v[3:4], v[9:10], -v[3:4]
	v_add_f64 v[1:2], v[1:2], v[3:4]
	s_delay_alu instid0(VALU_DEP_1) | instskip(NEXT) | instid1(VALU_DEP_1)
	v_add_f64 v[1:2], v[7:8], v[1:2]
	v_mul_f64 v[1:2], v[5:6], v[1:2]
	s_delay_alu instid0(VALU_DEP_1) | instskip(NEXT) | instid1(VALU_DEP_1)
	v_add_f64 v[3:4], v[11:12], v[1:2]
	v_add_f64 v[5:6], v[3:4], -v[11:12]
	v_mul_f64 v[7:8], v[3:4], v[3:4]
	s_delay_alu instid0(VALU_DEP_2) | instskip(NEXT) | instid1(VALU_DEP_2)
	v_add_f64 v[1:2], v[1:2], -v[5:6]
	v_fma_f64 v[5:6], v[3:4], v[3:4], -v[7:8]
	s_delay_alu instid0(VALU_DEP_2) | instskip(NEXT) | instid1(VALU_DEP_1)
	v_add_f64 v[9:10], v[1:2], v[1:2]
	v_fma_f64 v[5:6], v[3:4], v[9:10], v[5:6]
	s_delay_alu instid0(VALU_DEP_1) | instskip(NEXT) | instid1(VALU_DEP_1)
	v_add_f64 v[9:10], v[7:8], v[5:6]
	v_fma_f64 v[11:12], v[9:10], s[60:61], s[50:51]
	v_add_f64 v[7:8], v[9:10], -v[7:8]
	s_delay_alu instid0(VALU_DEP_2) | instskip(NEXT) | instid1(VALU_DEP_2)
	v_fma_f64 v[11:12], v[9:10], v[11:12], s[2:3]
	v_add_f64 v[5:6], v[5:6], -v[7:8]
	s_delay_alu instid0(VALU_DEP_2) | instskip(NEXT) | instid1(VALU_DEP_1)
	v_fma_f64 v[11:12], v[9:10], v[11:12], s[22:23]
	v_fma_f64 v[11:12], v[9:10], v[11:12], s[52:53]
	s_delay_alu instid0(VALU_DEP_1) | instskip(NEXT) | instid1(VALU_DEP_1)
	v_fma_f64 v[11:12], v[9:10], v[11:12], s[54:55]
	v_fma_f64 v[11:12], v[9:10], v[11:12], s[64:65]
	s_delay_alu instid0(VALU_DEP_1) | instskip(NEXT) | instid1(VALU_DEP_1)
	;; [unrolled: 3-line block ×3, first 2 shown]
	v_mul_f64 v[7:8], v[9:10], v[11:12]
	v_fma_f64 v[15:16], v[9:10], v[11:12], -v[7:8]
	s_delay_alu instid0(VALU_DEP_1) | instskip(SKIP_1) | instid1(VALU_DEP_1)
	v_fma_f64 v[11:12], v[5:6], v[11:12], v[15:16]
	v_mul_f64 v[15:16], v[3:4], v[9:10]
	v_fma_f64 v[17:18], v[9:10], v[3:4], -v[15:16]
	s_delay_alu instid0(VALU_DEP_1) | instskip(NEXT) | instid1(VALU_DEP_4)
	v_fma_f64 v[9:10], v[9:10], v[1:2], v[17:18]
	v_add_f64 v[17:18], v[7:8], v[11:12]
	v_ldexp_f64 v[1:2], v[1:2], 1
	s_delay_alu instid0(VALU_DEP_3) | instskip(NEXT) | instid1(VALU_DEP_3)
	v_fma_f64 v[5:6], v[5:6], v[3:4], v[9:10]
	v_add_f64 v[7:8], v[17:18], -v[7:8]
	v_ldexp_f64 v[3:4], v[3:4], 1
	s_delay_alu instid0(VALU_DEP_2) | instskip(SKIP_1) | instid1(VALU_DEP_2)
	v_add_f64 v[7:8], v[11:12], -v[7:8]
	v_add_f64 v[11:12], v[17:18], s[8:9]
	v_add_f64 v[7:8], v[7:8], s[72:73]
	s_delay_alu instid0(VALU_DEP_2) | instskip(NEXT) | instid1(VALU_DEP_1)
	v_add_f64 v[19:20], v[11:12], s[70:71]
	v_add_f64 v[17:18], v[17:18], -v[19:20]
	s_delay_alu instid0(VALU_DEP_1) | instskip(NEXT) | instid1(VALU_DEP_1)
	v_add_f64 v[7:8], v[7:8], v[17:18]
	v_add_f64 v[9:10], v[11:12], v[7:8]
	s_delay_alu instid0(VALU_DEP_1) | instskip(NEXT) | instid1(VALU_DEP_1)
	v_add_f64 v[11:12], v[11:12], -v[9:10]
	v_add_f64 v[7:8], v[7:8], v[11:12]
	v_add_f64 v[11:12], v[15:16], v[5:6]
	s_delay_alu instid0(VALU_DEP_1) | instskip(NEXT) | instid1(VALU_DEP_1)
	v_mul_f64 v[17:18], v[11:12], v[9:10]
	v_fma_f64 v[19:20], v[11:12], v[9:10], -v[17:18]
	s_delay_alu instid0(VALU_DEP_1) | instskip(SKIP_1) | instid1(VALU_DEP_1)
	v_fma_f64 v[7:8], v[11:12], v[7:8], v[19:20]
	v_add_f64 v[11:12], v[11:12], -v[15:16]
	v_add_f64 v[5:6], v[5:6], -v[11:12]
	v_frexp_exp_i32_f64_e32 v11, s[6:7]
	s_delay_alu instid0(VALU_DEP_2) | instskip(NEXT) | instid1(VALU_DEP_2)
	v_fma_f64 v[5:6], v[5:6], v[9:10], v[7:8]
	v_subrev_co_ci_u32_e32 v11, vcc_lo, 0, v11, vcc_lo
	s_delay_alu instid0(VALU_DEP_1) | instskip(NEXT) | instid1(VALU_DEP_1)
	v_cvt_f64_i32_e32 v[7:8], v11
	v_mul_f64 v[9:10], v[7:8], s[46:47]
	s_delay_alu instid0(VALU_DEP_1) | instskip(NEXT) | instid1(VALU_DEP_1)
	v_fma_f64 v[11:12], v[7:8], s[46:47], -v[9:10]
	v_fma_f64 v[7:8], v[7:8], s[48:49], v[11:12]
	v_add_f64 v[11:12], v[17:18], v[5:6]
	s_delay_alu instid0(VALU_DEP_1) | instskip(NEXT) | instid1(VALU_DEP_1)
	v_add_f64 v[15:16], v[11:12], -v[17:18]
	v_add_f64 v[5:6], v[5:6], -v[15:16]
	v_add_f64 v[15:16], v[3:4], v[11:12]
	s_delay_alu instid0(VALU_DEP_2) | instskip(NEXT) | instid1(VALU_DEP_2)
	v_add_f64 v[1:2], v[1:2], v[5:6]
	v_add_f64 v[3:4], v[15:16], -v[3:4]
	v_add_f64 v[5:6], v[9:10], v[7:8]
	s_delay_alu instid0(VALU_DEP_2) | instskip(NEXT) | instid1(VALU_DEP_1)
	v_add_f64 v[3:4], v[11:12], -v[3:4]
	v_add_f64 v[1:2], v[1:2], v[3:4]
	s_delay_alu instid0(VALU_DEP_3) | instskip(NEXT) | instid1(VALU_DEP_2)
	v_add_f64 v[3:4], v[5:6], -v[9:10]
	v_add_f64 v[9:10], v[15:16], v[1:2]
	s_delay_alu instid0(VALU_DEP_2) | instskip(NEXT) | instid1(VALU_DEP_2)
	v_add_f64 v[3:4], v[7:8], -v[3:4]
	v_add_f64 v[7:8], v[9:10], -v[15:16]
	v_add_f64 v[11:12], v[5:6], v[9:10]
	s_delay_alu instid0(VALU_DEP_2) | instskip(NEXT) | instid1(VALU_DEP_2)
	v_add_f64 v[1:2], v[1:2], -v[7:8]
	v_add_f64 v[7:8], v[11:12], -v[5:6]
	s_delay_alu instid0(VALU_DEP_1) | instskip(SKIP_1) | instid1(VALU_DEP_1)
	v_add_f64 v[9:10], v[9:10], -v[7:8]
	v_add_f64 v[7:8], v[11:12], -v[7:8]
	;; [unrolled: 1-line block ×3, first 2 shown]
	v_add_f64 v[7:8], v[3:4], v[1:2]
	s_delay_alu instid0(VALU_DEP_2) | instskip(NEXT) | instid1(VALU_DEP_2)
	v_add_f64 v[5:6], v[9:10], v[5:6]
	v_add_f64 v[9:10], v[7:8], -v[3:4]
	s_delay_alu instid0(VALU_DEP_2) | instskip(NEXT) | instid1(VALU_DEP_2)
	v_add_f64 v[5:6], v[7:8], v[5:6]
	v_add_f64 v[7:8], v[7:8], -v[9:10]
	v_add_f64 v[1:2], v[1:2], -v[9:10]
	s_delay_alu instid0(VALU_DEP_3) | instskip(NEXT) | instid1(VALU_DEP_3)
	v_add_f64 v[9:10], v[11:12], v[5:6]
	v_add_f64 v[3:4], v[3:4], -v[7:8]
	s_delay_alu instid0(VALU_DEP_2) | instskip(NEXT) | instid1(VALU_DEP_2)
	v_add_f64 v[7:8], v[9:10], -v[11:12]
	v_add_f64 v[1:2], v[1:2], v[3:4]
	s_delay_alu instid0(VALU_DEP_2) | instskip(NEXT) | instid1(VALU_DEP_1)
	v_add_f64 v[3:4], v[5:6], -v[7:8]
	v_add_f64 v[1:2], v[1:2], v[3:4]
	s_delay_alu instid0(VALU_DEP_1) | instskip(NEXT) | instid1(VALU_DEP_1)
	v_add_f64 v[5:6], v[9:10], v[1:2]
	v_add_f64 v[7:8], v[5:6], -v[9:10]
	v_mul_f64 v[3:4], s[42:43], v[5:6]
	v_mul_f64 v[9:10], s[42:43], 0.5
	s_delay_alu instid0(VALU_DEP_3) | instskip(NEXT) | instid1(VALU_DEP_3)
	v_add_f64 v[1:2], v[1:2], -v[7:8]
	v_fma_f64 v[5:6], s[42:43], v[5:6], -v[3:4]
	v_cmp_class_f64_e64 vcc_lo, v[3:4], 0x204
	s_delay_alu instid0(VALU_DEP_4) | instskip(NEXT) | instid1(VALU_DEP_3)
	v_trunc_f64_e32 v[11:12], v[9:10]
	v_fma_f64 v[1:2], s[42:43], v[1:2], v[5:6]
	s_delay_alu instid0(VALU_DEP_2) | instskip(NEXT) | instid1(VALU_DEP_2)
	v_cmp_neq_f64_e64 s3, v[11:12], v[9:10]
	v_add_f64 v[5:6], v[3:4], v[1:2]
	s_delay_alu instid0(VALU_DEP_1) | instskip(SKIP_1) | instid1(VALU_DEP_2)
	v_dual_cndmask_b32 v8, v6, v4 :: v_dual_cndmask_b32 v7, v5, v3
	v_add_f64 v[3:4], v[5:6], -v[3:4]
	v_mul_f64 v[9:10], v[7:8], s[74:75]
	v_cmp_lt_f64_e64 s2, 0x40900000, v[7:8]
	v_cmp_ngt_f64_e64 s4, 0xc090cc00, v[7:8]
	s_delay_alu instid0(VALU_DEP_4) | instskip(NEXT) | instid1(VALU_DEP_4)
	v_add_f64 v[1:2], v[1:2], -v[3:4]
	v_rndne_f64_e32 v[9:10], v[9:10]
	s_delay_alu instid0(VALU_DEP_1) | instskip(SKIP_1) | instid1(VALU_DEP_2)
	v_fma_f64 v[11:12], v[9:10], s[76:77], v[7:8]
	v_cvt_i32_f64_e32 v13, v[9:10]
	v_fma_f64 v[11:12], v[9:10], s[78:79], v[11:12]
	s_delay_alu instid0(VALU_DEP_1) | instskip(NEXT) | instid1(VALU_DEP_1)
	v_fma_f64 v[9:10], v[11:12], s[82:83], s[80:81]
	v_fma_f64 v[9:10], v[11:12], v[9:10], s[84:85]
	s_delay_alu instid0(VALU_DEP_1) | instskip(NEXT) | instid1(VALU_DEP_1)
	v_fma_f64 v[9:10], v[11:12], v[9:10], s[86:87]
	;; [unrolled: 3-line block ×5, first 2 shown]
	v_fma_f64 v[9:10], v[11:12], v[9:10], 1.0
	s_delay_alu instid0(VALU_DEP_1) | instskip(NEXT) | instid1(VALU_DEP_1)
	v_fma_f64 v[9:10], v[11:12], v[9:10], 1.0
	v_ldexp_f64 v[9:10], v[9:10], v13
	v_trunc_f64_e32 v[12:13], s[42:43]
	s_delay_alu instid0(VALU_DEP_2) | instskip(SKIP_1) | instid1(VALU_DEP_3)
	v_cndmask_b32_e64 v11, v10, 0x7ff00000, s2
	v_and_b32_e32 v10, 0x7fffffff, v10
	v_cmp_eq_f64_e32 vcc_lo, s[42:43], v[12:13]
	s_delay_alu instid0(VALU_DEP_2) | instskip(SKIP_1) | instid1(VALU_DEP_1)
	v_cmp_eq_f64_e64 s5, 0x7ff00000, v[9:10]
	s_and_b32 s21, vcc_lo, s3
	s_or_b32 s5, s2, s5
	s_delay_alu instid0(SALU_CYCLE_1)
	s_and_b32 s3, s4, s5
	s_and_b32 s5, s21, exec_lo
	s_cselect_b32 s31, s45, 0x3ff00000
	s_and_b32 s16, s24, 0x7fffffff
	s_and_b32 s5, s18, exec_lo
	s_cselect_b32 s63, 0x3ff00000, s16
	s_cselect_b32 s62, 0, s17
	v_cmp_lt_f64_e64 s5, s[6:7], 1.0
	v_cmp_neq_f64_e64 s18, s[42:43], s[62:63]
	s_delay_alu instid0(VALU_DEP_1) | instskip(NEXT) | instid1(SALU_CYCLE_1)
	s_xor_b32 s5, s18, s5
	s_and_b32 s5, s5, exec_lo
	s_cselect_b32 s5, 0, s63
	s_cselect_b32 s20, 0, s62
	s_and_b32 s18, s19, exec_lo
	s_cselect_b32 s18, s7, s5
	s_cselect_b32 s19, s6, s20
	v_cmp_eq_f64_e64 s5, 0x7ff00000, s[6:7]
	v_cmp_eq_f64_e64 s6, s[44:45], 0
	v_cmp_eq_f64_e64 s20, s[58:59], 1.0
	s_delay_alu instid0(VALU_DEP_2) | instskip(NEXT) | instid1(VALU_DEP_3)
	s_xor_b32 s7, s25, s6
	s_or_b32 s5, s5, s6
	s_and_b32 s6, s7, exec_lo
	s_cselect_b32 s34, 0, 0x7ff00000
	s_and_b32 s6, s21, exec_lo
	s_cselect_b32 s35, s45, 0
	s_delay_alu instid0(VALU_DEP_1) | instskip(SKIP_2) | instid1(SALU_CYCLE_1)
	s_and_b32 s6, s20, exec_lo
	s_cselect_b32 s91, 0x3ff00000, s24
	s_cselect_b32 s90, 0, s17
	v_cmp_eq_f64_e64 s6, s[90:91], 0
	s_delay_alu instid0(VALU_DEP_1)
	s_and_b32 s7, s6, exec_lo
	s_cselect_b32 s103, 0x3ff00000, s59
	s_cselect_b32 s102, 0, s58
	s_and_b32 s7, s59, 0x7fffffff
	s_and_b32 s6, s6, exec_lo
	s_cselect_b32 s25, 0x3ff00000, s7
	s_cselect_b32 s24, 0, s58
	v_cmp_eq_f64_e64 s21, s[102:103], 0
	v_frexp_mant_f64_e32 v[12:13], s[24:25]
	v_frexp_exp_i32_f64_e32 v10, s[24:25]
	s_delay_alu instid0(VALU_DEP_2) | instskip(NEXT) | instid1(VALU_DEP_1)
	v_cmp_gt_f64_e64 s6, s[8:9], v[12:13]
	s_and_b32 s7, s6, exec_lo
	s_cselect_b32 s37, 2.0, 0x3ff00000
	s_delay_alu instid0(VALU_DEP_2) | instskip(SKIP_1) | instid1(VALU_DEP_1)
	v_subrev_co_ci_u32_e64 v10, s6, 0, v10, s6
	v_mul_f64 v[12:13], v[12:13], s[36:37]
	v_add_f64 v[15:16], v[12:13], 1.0
	s_delay_alu instid0(VALU_DEP_1) | instskip(SKIP_3) | instid1(VALU_DEP_1)
	v_rcp_f64_e32 v[17:18], v[15:16]
	v_add_f64 v[21:22], v[15:16], -1.0
	s_waitcnt_depctr 0xfff
	v_fma_f64 v[19:20], -v[15:16], v[17:18], 1.0
	v_fma_f64 v[17:18], v[19:20], v[17:18], v[17:18]
	s_delay_alu instid0(VALU_DEP_1) | instskip(NEXT) | instid1(VALU_DEP_1)
	v_fma_f64 v[19:20], -v[15:16], v[17:18], 1.0
	v_fma_f64 v[17:18], v[19:20], v[17:18], v[17:18]
	v_add_f64 v[19:20], v[12:13], -v[21:22]
	v_add_f64 v[12:13], v[12:13], -1.0
	s_delay_alu instid0(VALU_DEP_1) | instskip(NEXT) | instid1(VALU_DEP_1)
	v_mul_f64 v[21:22], v[12:13], v[17:18]
	v_mul_f64 v[23:24], v[15:16], v[21:22]
	s_delay_alu instid0(VALU_DEP_1) | instskip(NEXT) | instid1(VALU_DEP_1)
	v_fma_f64 v[15:16], v[21:22], v[15:16], -v[23:24]
	v_fma_f64 v[15:16], v[21:22], v[19:20], v[15:16]
	s_delay_alu instid0(VALU_DEP_1) | instskip(NEXT) | instid1(VALU_DEP_1)
	v_add_f64 v[19:20], v[23:24], v[15:16]
	v_add_f64 v[23:24], v[19:20], -v[23:24]
	s_delay_alu instid0(VALU_DEP_1) | instskip(SKIP_1) | instid1(VALU_DEP_1)
	v_add_f64 v[15:16], v[23:24], -v[15:16]
	v_add_f64 v[23:24], v[12:13], -v[19:20]
	;; [unrolled: 1-line block ×3, first 2 shown]
	s_delay_alu instid0(VALU_DEP_1) | instskip(NEXT) | instid1(VALU_DEP_1)
	v_add_f64 v[12:13], v[12:13], -v[19:20]
	v_add_f64 v[12:13], v[15:16], v[12:13]
	s_delay_alu instid0(VALU_DEP_1) | instskip(NEXT) | instid1(VALU_DEP_1)
	v_add_f64 v[12:13], v[23:24], v[12:13]
	v_mul_f64 v[12:13], v[17:18], v[12:13]
	s_delay_alu instid0(VALU_DEP_1) | instskip(NEXT) | instid1(VALU_DEP_1)
	v_add_f64 v[15:16], v[21:22], v[12:13]
	v_add_f64 v[19:20], v[15:16], -v[21:22]
	v_mul_f64 v[17:18], v[15:16], v[15:16]
	s_delay_alu instid0(VALU_DEP_2) | instskip(NEXT) | instid1(VALU_DEP_2)
	v_add_f64 v[12:13], v[12:13], -v[19:20]
	v_fma_f64 v[21:22], v[15:16], v[15:16], -v[17:18]
	s_delay_alu instid0(VALU_DEP_2) | instskip(NEXT) | instid1(VALU_DEP_1)
	v_add_f64 v[19:20], v[12:13], v[12:13]
	v_fma_f64 v[19:20], v[15:16], v[19:20], v[21:22]
	s_delay_alu instid0(VALU_DEP_1) | instskip(NEXT) | instid1(VALU_DEP_1)
	v_add_f64 v[21:22], v[17:18], v[19:20]
	v_fma_f64 v[23:24], v[21:22], s[60:61], s[50:51]
	v_add_f64 v[17:18], v[21:22], -v[17:18]
	s_mov_b32 s50, 0x3abe935a
	s_mov_b32 s51, 0x3fbe25e4
	s_delay_alu instid0(VALU_DEP_1) | instskip(NEXT) | instid1(VALU_DEP_3)
	v_add_f64 v[17:18], v[19:20], -v[17:18]
	v_fma_f64 v[19:20], v[21:22], v[23:24], s[50:51]
	s_delay_alu instid0(VALU_DEP_1) | instskip(SKIP_1) | instid1(VALU_DEP_2)
	v_fma_f64 v[19:20], v[21:22], v[19:20], s[22:23]
	v_cmp_eq_f64_e64 s22, 0x7ff00000, s[24:25]
	v_fma_f64 v[19:20], v[21:22], v[19:20], s[52:53]
	s_delay_alu instid0(VALU_DEP_1) | instskip(NEXT) | instid1(VALU_DEP_1)
	v_fma_f64 v[19:20], v[21:22], v[19:20], s[54:55]
	v_fma_f64 v[19:20], v[21:22], v[19:20], s[64:65]
	s_delay_alu instid0(VALU_DEP_1) | instskip(NEXT) | instid1(VALU_DEP_1)
	v_fma_f64 v[19:20], v[21:22], v[19:20], s[66:67]
	v_fma_f64 v[19:20], v[21:22], v[19:20], s[68:69]
	s_delay_alu instid0(VALU_DEP_1) | instskip(NEXT) | instid1(VALU_DEP_1)
	v_mul_f64 v[23:24], v[21:22], v[19:20]
	v_fma_f64 v[25:26], v[21:22], v[19:20], -v[23:24]
	s_delay_alu instid0(VALU_DEP_1) | instskip(SKIP_1) | instid1(VALU_DEP_1)
	v_fma_f64 v[19:20], v[17:18], v[19:20], v[25:26]
	v_mul_f64 v[25:26], v[15:16], v[21:22]
	v_fma_f64 v[27:28], v[21:22], v[15:16], -v[25:26]
	s_delay_alu instid0(VALU_DEP_1) | instskip(NEXT) | instid1(VALU_DEP_4)
	v_fma_f64 v[21:22], v[21:22], v[12:13], v[27:28]
	v_add_f64 v[27:28], v[23:24], v[19:20]
	v_ldexp_f64 v[12:13], v[12:13], 1
	s_delay_alu instid0(VALU_DEP_3) | instskip(NEXT) | instid1(VALU_DEP_3)
	v_fma_f64 v[17:18], v[17:18], v[15:16], v[21:22]
	v_add_f64 v[23:24], v[27:28], -v[23:24]
	v_ldexp_f64 v[15:16], v[15:16], 1
	s_delay_alu instid0(VALU_DEP_2) | instskip(SKIP_1) | instid1(VALU_DEP_2)
	v_add_f64 v[19:20], v[19:20], -v[23:24]
	v_add_f64 v[23:24], v[27:28], s[8:9]
	v_add_f64 v[19:20], v[19:20], s[72:73]
	s_delay_alu instid0(VALU_DEP_2) | instskip(NEXT) | instid1(VALU_DEP_1)
	v_add_f64 v[29:30], v[23:24], s[70:71]
	v_add_f64 v[27:28], v[27:28], -v[29:30]
	s_delay_alu instid0(VALU_DEP_1) | instskip(NEXT) | instid1(VALU_DEP_1)
	v_add_f64 v[19:20], v[19:20], v[27:28]
	v_add_f64 v[21:22], v[23:24], v[19:20]
	s_delay_alu instid0(VALU_DEP_1) | instskip(NEXT) | instid1(VALU_DEP_1)
	v_add_f64 v[23:24], v[23:24], -v[21:22]
	v_add_f64 v[19:20], v[19:20], v[23:24]
	v_add_f64 v[23:24], v[25:26], v[17:18]
	s_delay_alu instid0(VALU_DEP_1) | instskip(NEXT) | instid1(VALU_DEP_1)
	v_mul_f64 v[27:28], v[23:24], v[21:22]
	v_fma_f64 v[29:30], v[23:24], v[21:22], -v[27:28]
	s_delay_alu instid0(VALU_DEP_1) | instskip(SKIP_1) | instid1(VALU_DEP_1)
	v_fma_f64 v[19:20], v[23:24], v[19:20], v[29:30]
	v_add_f64 v[23:24], v[23:24], -v[25:26]
	v_add_f64 v[17:18], v[17:18], -v[23:24]
	s_delay_alu instid0(VALU_DEP_1) | instskip(SKIP_1) | instid1(VALU_DEP_1)
	v_fma_f64 v[17:18], v[17:18], v[21:22], v[19:20]
	v_mul_f64 v[19:20], s[90:91], 0.5
	v_trunc_f64_e32 v[21:22], v[19:20]
	s_delay_alu instid0(VALU_DEP_1) | instskip(NEXT) | instid1(VALU_DEP_4)
	v_cmp_neq_f64_e64 s7, v[21:22], v[19:20]
	v_add_f64 v[19:20], v[27:28], v[17:18]
	s_delay_alu instid0(VALU_DEP_1) | instskip(NEXT) | instid1(VALU_DEP_1)
	v_add_f64 v[21:22], v[19:20], -v[27:28]
	v_add_f64 v[17:18], v[17:18], -v[21:22]
	v_add_f64 v[21:22], v[15:16], v[19:20]
	s_delay_alu instid0(VALU_DEP_2) | instskip(NEXT) | instid1(VALU_DEP_2)
	v_add_f64 v[12:13], v[12:13], v[17:18]
	v_add_f64 v[15:16], v[21:22], -v[15:16]
	v_cvt_f64_i32_e32 v[17:18], v10
	s_delay_alu instid0(VALU_DEP_2) | instskip(NEXT) | instid1(VALU_DEP_2)
	v_add_f64 v[15:16], v[19:20], -v[15:16]
	v_mul_f64 v[19:20], v[17:18], s[46:47]
	s_delay_alu instid0(VALU_DEP_2) | instskip(NEXT) | instid1(VALU_DEP_2)
	v_add_f64 v[12:13], v[12:13], v[15:16]
	v_fma_f64 v[23:24], v[17:18], s[46:47], -v[19:20]
	s_delay_alu instid0(VALU_DEP_1) | instskip(NEXT) | instid1(VALU_DEP_1)
	v_fma_f64 v[17:18], v[17:18], s[48:49], v[23:24]
	v_add_f64 v[15:16], v[19:20], v[17:18]
	s_delay_alu instid0(VALU_DEP_1) | instskip(NEXT) | instid1(VALU_DEP_1)
	v_add_f64 v[19:20], v[15:16], -v[19:20]
	v_add_f64 v[17:18], v[17:18], -v[19:20]
	v_add_f64 v[19:20], v[21:22], v[12:13]
	s_delay_alu instid0(VALU_DEP_1) | instskip(SKIP_1) | instid1(VALU_DEP_2)
	v_add_f64 v[23:24], v[15:16], v[19:20]
	v_add_f64 v[21:22], v[19:20], -v[21:22]
	v_add_f64 v[25:26], v[23:24], -v[15:16]
	s_delay_alu instid0(VALU_DEP_2) | instskip(NEXT) | instid1(VALU_DEP_2)
	v_add_f64 v[12:13], v[12:13], -v[21:22]
	v_add_f64 v[19:20], v[19:20], -v[25:26]
	;; [unrolled: 1-line block ×3, first 2 shown]
	s_delay_alu instid0(VALU_DEP_1) | instskip(NEXT) | instid1(VALU_DEP_1)
	v_add_f64 v[15:16], v[15:16], -v[25:26]
	v_add_f64 v[15:16], v[19:20], v[15:16]
	v_add_f64 v[19:20], v[17:18], v[12:13]
	s_delay_alu instid0(VALU_DEP_1) | instskip(NEXT) | instid1(VALU_DEP_3)
	v_add_f64 v[21:22], v[19:20], -v[17:18]
	v_add_f64 v[15:16], v[19:20], v[15:16]
	s_delay_alu instid0(VALU_DEP_2) | instskip(SKIP_1) | instid1(VALU_DEP_1)
	v_add_f64 v[12:13], v[12:13], -v[21:22]
	v_add_f64 v[21:22], v[19:20], -v[21:22]
	;; [unrolled: 1-line block ×3, first 2 shown]
	s_delay_alu instid0(VALU_DEP_1) | instskip(SKIP_1) | instid1(VALU_DEP_1)
	v_add_f64 v[12:13], v[12:13], v[17:18]
	v_add_f64 v[17:18], v[23:24], v[15:16]
	v_add_f64 v[19:20], v[17:18], -v[23:24]
	s_delay_alu instid0(VALU_DEP_1) | instskip(NEXT) | instid1(VALU_DEP_1)
	v_add_f64 v[15:16], v[15:16], -v[19:20]
	v_add_f64 v[12:13], v[12:13], v[15:16]
	s_delay_alu instid0(VALU_DEP_1) | instskip(NEXT) | instid1(VALU_DEP_1)
	v_add_f64 v[15:16], v[17:18], v[12:13]
	v_add_f64 v[17:18], v[15:16], -v[17:18]
	s_delay_alu instid0(VALU_DEP_1) | instskip(SKIP_1) | instid1(VALU_DEP_1)
	v_add_f64 v[12:13], v[12:13], -v[17:18]
	v_mul_f64 v[17:18], s[90:91], v[15:16]
	v_fma_f64 v[15:16], s[90:91], v[15:16], -v[17:18]
	v_cmp_class_f64_e64 s6, v[17:18], 0x204
	s_delay_alu instid0(VALU_DEP_2) | instskip(NEXT) | instid1(VALU_DEP_1)
	v_fma_f64 v[12:13], s[90:91], v[12:13], v[15:16]
	v_add_f64 v[15:16], v[17:18], v[12:13]
	s_delay_alu instid0(VALU_DEP_1) | instskip(NEXT) | instid1(VALU_DEP_2)
	v_cndmask_b32_e64 v20, v16, v18, s6
	v_cndmask_b32_e64 v19, v15, v17, s6
	v_add_f64 v[15:16], v[15:16], -v[17:18]
	s_delay_alu instid0(VALU_DEP_2) | instskip(SKIP_1) | instid1(VALU_DEP_3)
	v_cmp_neq_f64_e64 s6, 0x7ff00000, |v[19:20]|
	v_cmp_ngt_f64_e64 s8, 0xc090cc00, v[19:20]
	v_add_f64 v[12:13], v[12:13], -v[15:16]
	v_mul_f64 v[15:16], v[19:20], s[74:75]
	s_delay_alu instid0(VALU_DEP_2) | instskip(NEXT) | instid1(VALU_DEP_2)
	v_cndmask_b32_e64 v13, 0, v13, s6
	v_rndne_f64_e32 v[15:16], v[15:16]
	s_delay_alu instid0(VALU_DEP_4) | instskip(SKIP_1) | instid1(VALU_DEP_3)
	v_cndmask_b32_e64 v12, 0, v12, s6
	v_cmp_lt_f64_e64 s6, 0x40900000, v[19:20]
	v_fma_f64 v[17:18], v[15:16], s[76:77], v[19:20]
	v_cvt_i32_f64_e32 v10, v[15:16]
	s_delay_alu instid0(VALU_DEP_2) | instskip(NEXT) | instid1(VALU_DEP_1)
	v_fma_f64 v[17:18], v[15:16], s[78:79], v[17:18]
	v_fma_f64 v[19:20], v[17:18], s[82:83], s[80:81]
	s_delay_alu instid0(VALU_DEP_1) | instskip(NEXT) | instid1(VALU_DEP_1)
	v_fma_f64 v[19:20], v[17:18], v[19:20], s[84:85]
	v_fma_f64 v[19:20], v[17:18], v[19:20], s[86:87]
	s_delay_alu instid0(VALU_DEP_1) | instskip(NEXT) | instid1(VALU_DEP_1)
	;; [unrolled: 3-line block ×5, first 2 shown]
	v_fma_f64 v[19:20], v[17:18], v[19:20], 1.0
	v_fma_f64 v[17:18], v[17:18], v[19:20], 1.0
	s_delay_alu instid0(VALU_DEP_1) | instskip(NEXT) | instid1(VALU_DEP_1)
	v_ldexp_f64 v[15:16], v[17:18], v10
	v_cndmask_b32_e64 v10, v16, 0x7ff00000, s6
	v_and_b32_e32 v16, 0x7fffffff, v16
	s_delay_alu instid0(VALU_DEP_1) | instskip(SKIP_1) | instid1(VALU_DEP_4)
	v_cmp_eq_f64_e64 s9, 0x7ff00000, v[15:16]
	v_cndmask_b32_e64 v15, v15, 0, s6
	v_cndmask_b32_e64 v16, 0, v10, s8
	s_delay_alu instid0(VALU_DEP_2) | instskip(NEXT) | instid1(VALU_DEP_1)
	v_cndmask_b32_e64 v15, 0, v15, s8
	v_fma_f64 v[12:13], v[15:16], v[12:13], v[15:16]
	s_or_b32 s6, s6, s9
	s_delay_alu instid0(SALU_CYCLE_1) | instskip(SKIP_1) | instid1(VALU_DEP_2)
	s_and_b32 s6, s8, s6
	v_cmp_lt_f64_e64 s8, s[102:103], 0
	v_cndmask_b32_e64 v10, v12, v15, s6
	s_delay_alu instid0(VALU_DEP_3) | instskip(SKIP_1) | instid1(VALU_DEP_1)
	v_cndmask_b32_e64 v15, v13, v16, s6
	v_trunc_f64_e32 v[12:13], s[90:91]
	v_cmp_eq_f64_e64 s6, s[90:91], v[12:13]
	s_delay_alu instid0(VALU_DEP_1) | instskip(SKIP_1) | instid1(SALU_CYCLE_1)
	v_cndmask_b32_e64 v12, 0, v10, s6
	s_and_b32 s9, s6, s7
	s_and_b32 s7, s9, exec_lo
	s_cselect_b32 s7, s103, 0x3ff00000
	s_delay_alu instid0(VALU_DEP_1) | instskip(SKIP_1) | instid1(VALU_DEP_1)
	v_cndmask_b32_e64 v10, v10, v12, s8
	v_bfi_b32 v12, 0x7fffffff, v15, s7
	v_cndmask_b32_e64 v13, 0x7ff80000, v12, s6
	s_and_b32 s6, s20, exec_lo
	s_cselect_b32 s7, 0x3ff00000, s16
	s_cselect_b32 s6, 0, s17
	v_cmp_eq_f64_e64 s17, s[24:25], 1.0
	v_cndmask_b32_e64 v12, v12, v13, s8
	v_cmp_lt_f64_e64 s8, s[24:25], 1.0
	v_cmp_neq_f64_e64 s16, s[90:91], s[6:7]
	v_cmp_lt_f64_e64 s20, s[90:91], 0
	v_cmp_eq_f64_e64 s23, 0x7ff00000, s[6:7]
	s_delay_alu instid0(VALU_DEP_3) | instskip(NEXT) | instid1(SALU_CYCLE_1)
	s_xor_b32 s8, s16, s8
	s_and_b32 s8, s8, exec_lo
	s_cselect_b32 s7, 0, s7
	s_cselect_b32 s6, 0, s6
	s_and_b32 s8, s17, exec_lo
	s_cselect_b32 s7, s25, s7
	s_cselect_b32 s8, s24, s6
	s_delay_alu instid0(VALU_DEP_2)
	s_xor_b32 s16, s20, s21
	s_or_b32 s6, s22, s21
	s_and_b32 s16, s16, exec_lo
	s_cselect_b32 s16, 0, 0x7ff00000
	s_and_b32 s9, s9, exec_lo
	s_cselect_b32 s9, s103, 0
	s_delay_alu instid0(VALU_DEP_1) | instskip(SKIP_3) | instid1(VALU_DEP_3)
	v_cndmask_b32_e64 v12, v12, s7, s23
	v_mov_b32_e32 v13, s9
	v_cndmask_b32_e64 v10, v10, s8, s23
	v_cmp_neq_f64_e64 s7, 0x7ff00000, |v[7:8]|
	v_bfi_b32 v13, 0x7fffffff, s16, v13
	v_readlane_b32 s16, v82, 0
	v_readlane_b32 s17, v82, 1
	s_delay_alu instid0(VALU_DEP_3) | instskip(SKIP_2) | instid1(VALU_DEP_2)
	v_cndmask_b32_e64 v13, v12, v13, s6
	v_cndmask_b32_e64 v12, v10, 0, s6
	v_cmp_o_f64_e64 s6, s[102:103], s[90:91]
	v_add_f64 v[12:13], -v[12:13], 1.0
	v_cndmask_b32_e64 v2, 0, v2, s7
	v_cndmask_b32_e64 v1, 0, v1, s7
	s_delay_alu instid0(VALU_DEP_3) | instskip(NEXT) | instid1(VALU_DEP_4)
	v_cndmask_b32_e64 v13, 0x7ff80000, v13, s6
	v_cndmask_b32_e64 v12, 0, v12, s6
	s_delay_alu instid0(VALU_DEP_1) | instskip(NEXT) | instid1(VALU_DEP_1)
	v_cmp_gt_f64_e64 s6, 0x10000000, v[12:13]
	v_cndmask_b32_e64 v10, 0, 1, s6
	s_delay_alu instid0(VALU_DEP_1) | instskip(NEXT) | instid1(VALU_DEP_1)
	v_lshlrev_b32_e32 v10, 8, v10
	v_ldexp_f64 v[12:13], v[12:13], v10
	s_delay_alu instid0(VALU_DEP_1) | instskip(SKIP_3) | instid1(VALU_DEP_1)
	v_rsq_f64_e32 v[5:6], v[12:13]
	s_waitcnt_depctr 0xfff
	v_mul_f64 v[7:8], v[12:13], v[5:6]
	v_mul_f64 v[5:6], v[5:6], 0.5
	v_fma_f64 v[3:4], -v[5:6], v[7:8], 0.5
	s_delay_alu instid0(VALU_DEP_1) | instskip(SKIP_1) | instid1(VALU_DEP_2)
	v_fma_f64 v[7:8], v[7:8], v[3:4], v[7:8]
	v_fma_f64 v[3:4], v[5:6], v[3:4], v[5:6]
	v_fma_f64 v[5:6], -v[7:8], v[7:8], v[12:13]
	s_delay_alu instid0(VALU_DEP_1) | instskip(SKIP_3) | instid1(VALU_DEP_3)
	v_fma_f64 v[5:6], v[5:6], v[3:4], v[7:8]
	v_cndmask_b32_e64 v7, v9, 0, s2
	v_cndmask_b32_e64 v8, 0, v11, s4
	v_cmp_lt_f64_e64 s2, s[44:45], 0
	v_cndmask_b32_e64 v7, 0, v7, s4
	v_cmp_eq_f64_e64 s4, 0x7ff00000, s[62:63]
	s_delay_alu instid0(VALU_DEP_2) | instskip(SKIP_1) | instid1(VALU_DEP_2)
	v_fma_f64 v[1:2], v[7:8], v[1:2], v[7:8]
	v_fma_f64 v[9:10], -v[5:6], v[5:6], v[12:13]
	v_cndmask_b32_e64 v2, v2, v8, s3
	s_delay_alu instid0(VALU_DEP_3) | instskip(NEXT) | instid1(VALU_DEP_2)
	v_cndmask_b32_e64 v1, v1, v7, s3
	v_bfi_b32 v2, 0x7fffffff, v2, s31
	s_delay_alu instid0(VALU_DEP_4) | instskip(NEXT) | instid1(VALU_DEP_2)
	v_fma_f64 v[3:4], v[9:10], v[3:4], v[5:6]
	v_cndmask_b32_e32 v5, 0x7ff80000, v2, vcc_lo
	s_delay_alu instid0(VALU_DEP_4) | instskip(SKIP_1) | instid1(VALU_DEP_3)
	v_cndmask_b32_e32 v6, 0, v1, vcc_lo
	v_cmp_o_f64_e64 vcc_lo, s[44:45], s[42:43]
	v_cndmask_b32_e64 v2, v2, v5, s2
	v_mov_b32_e32 v5, s35
	s_delay_alu instid0(VALU_DEP_4)
	v_cndmask_b32_e64 v1, v1, v6, s2
	s_and_b32 s2, s6, exec_lo
	s_cselect_b32 s3, 0xffffff80, 0
	v_cndmask_b32_e64 v2, v2, s18, s4
	v_bfi_b32 v5, 0x7fffffff, s34, v5
	v_cndmask_b32_e64 v1, v1, s19, s4
	v_cmp_class_f64_e64 s2, v[12:13], 0x260
	s_sub_u32 s8, s16, s40
	s_subb_u32 s9, s17, s41
	v_cndmask_b32_e64 v2, v2, v5, s5
	v_cndmask_b32_e64 v1, v1, 0, s5
	s_delay_alu instid0(VALU_DEP_1)
	v_add_f64 v[1:2], -v[1:2], 1.0
	v_ldexp_f64 v[6:7], v[3:4], s3
	s_clause 0x1
	s_load_b32 s3, s[0:1], 0xd10
	s_load_b64 s[4:5], s[38:39], 0x3c0
	s_waitcnt lgkmcnt(0)
	s_bitcmp1_b32 s3, 0
	s_cselect_b32 s24, -1, 0
	s_lshl_b64 s[6:7], s[40:41], 1
	s_delay_alu instid0(VALU_DEP_2)
	v_cndmask_b32_e32 v5, 0x7ff80000, v2, vcc_lo
	s_add_u32 s25, s4, s6
	s_addc_u32 s31, s5, s7
	s_and_b32 s3, s16, 3
	s_and_b32 s6, s25, 7
	s_mov_b32 s7, s36
	s_or_b32 s6, s6, s3
	s_delay_alu instid0(VALU_DEP_3) | instskip(SKIP_3) | instid1(VALU_DEP_4)
	v_cndmask_b32_e32 v4, 0, v1, vcc_lo
	s_cmp_eq_u64 s[6:7], 0
	v_readlane_b32 s6, v82, 10
	s_cselect_b32 s3, -1, 0
	v_cndmask_b32_e64 v3, v7, v13, s2
	v_cndmask_b32_e64 v2, v6, v12, s2
	s_delay_alu instid0(VALU_DEP_3)
	s_and_b32 s3, s6, s3
	s_mov_b32 s2, -1
	s_and_b32 vcc_lo, exec_lo, s3
	s_cbranch_vccnz .LBB0_86
; %bb.9:
	v_cmp_lt_i64_e64 s2, s[8:9], 1
	s_delay_alu instid0(VALU_DEP_1)
	s_and_b32 vcc_lo, exec_lo, s2
	s_cbranch_vccnz .LBB0_85
; %bb.10:
	v_cvt_f32_f64_e32 v40, v[4:5]
	s_clause 0x1
	s_load_b32 s2, s[0:1], 0xd34
	s_load_b128 s[20:23], s[0:1], 0xd00
	v_dual_mov_b32 v1, 0 :: v_dual_lshlrev_b32 v6, 2, v0
	v_lshlrev_b32_e32 v8, 1, v0
	v_cmp_gt_u64_e64 s3, 0x10000, s[8:9]
	v_cvt_f32_f64_e32 v15, v[2:3]
	s_delay_alu instid0(VALU_DEP_4)
	v_mov_b32_e32 v7, v1
	v_cvt_f32_f64_e32 v16, s[56:57]
	v_cvt_f32_f64_e32 v17, s[58:59]
	v_readlane_b32 s18, v82, 4
	v_readlane_b32 s19, v82, 5
	v_readlane_b32 s34, v82, 8
	v_readlane_b32 s35, v82, 9
	s_mov_b32 s17, 0
	s_waitcnt lgkmcnt(0)
	s_and_b32 s38, s2, 0xffff
	v_mov_b32_e32 v9, v1
	v_mad_u64_u32 v[10:11], null, s38, 12, v[6:7]
	v_cvt_f32_f64_e32 v39, s[20:21]
	v_readlane_b32 s20, v82, 2
	s_delay_alu instid0(VALU_DEP_4)
	v_mad_u64_u32 v[12:13], null, s38, 6, v[8:9]
	s_and_b32 s2, s3, exec_lo
	v_cvt_f32_f64_e32 v18, s[22:23]
	v_readlane_b32 s21, v82, 3
	s_cselect_b32 s37, s9, 0
	s_cselect_b32 s36, s8, 0x10000
	s_lshl_b32 s39, s38, 1
	s_cmp_lg_u64 s[12:13], 0
	v_add_co_u32 v19, s6, s20, v6
	v_div_scale_f32 v35, null, v40, v40, v14
	v_div_scale_f32 v9, vcc_lo, v14, v40, v14
	s_cselect_b32 s40, -1, 0
	s_delay_alu instid0(VALU_DEP_2)
	v_rcp_f32_e32 v37, v35
	s_lshl_b32 s41, s38, 3
	v_add_co_ci_u32_e64 v20, null, s21, 0, s6
	v_add_co_u32 v21, s6, s18, v6
	v_add_co_u32 v6, s2, s41, v6
	v_readlane_b32 s22, v82, 6
	v_readlane_b32 s23, v82, 7
	s_waitcnt_depctr 0xfff
	v_fma_f32 v7, -v35, v37, 1.0
	v_add_co_ci_u32_e64 v22, null, s19, 0, s6
	v_add_co_u32 v23, s6, s22, v8
	s_delay_alu instid0(VALU_DEP_3) | instskip(SKIP_2) | instid1(VALU_DEP_3)
	v_fmac_f32_e32 v37, v7, v37
	v_add_co_ci_u32_e64 v7, null, 0, 0, s2
	v_add_co_ci_u32_e64 v24, null, s23, 0, s6
	v_mul_f32_e32 v38, v9, v37
	v_add_co_u32 v25, s6, s34, v8
	s_lshl_b32 s16, s38, 2
	v_add_co_ci_u32_e64 v26, null, s35, 0, s6
	s_delay_alu instid0(VALU_DEP_3) | instskip(SKIP_2) | instid1(VALU_DEP_3)
	v_fma_f32 v33, -v35, v38, v9
	v_add_co_u32 v27, s6, s4, v8
	v_add_co_u32 v8, s3, s16, v8
	v_fmac_f32_e32 v38, v33, v37
	v_add_co_u32 v29, s2, s20, v10
	s_delay_alu instid0(VALU_DEP_1) | instskip(NEXT) | instid1(VALU_DEP_3)
	v_add_co_ci_u32_e64 v30, s2, s21, v11, s2
	v_fma_f32 v9, -v35, v38, v9
	v_add_co_u32 v31, s2, s18, v10
	s_delay_alu instid0(VALU_DEP_1) | instskip(NEXT) | instid1(VALU_DEP_3)
	v_add_co_ci_u32_e64 v32, s2, s19, v11, s2
	v_div_fmas_f32 v9, v9, v37, v38
	v_add_co_u32 v37, vcc_lo, s4, v12
	v_add_co_ci_u32_e32 v38, vcc_lo, s5, v13, vcc_lo
	v_add_co_u32 v41, vcc_lo, s20, v6
	v_add_co_ci_u32_e32 v42, vcc_lo, s21, v7, vcc_lo
	v_add_co_u32 v43, vcc_lo, s18, v6
	v_add_nc_u32_e32 v6, s38, v0
	v_add_co_ci_u32_e32 v44, vcc_lo, s19, v7, vcc_lo
	v_div_fixup_f32 v40, v9, v40, v14
	v_add_co_ci_u32_e64 v9, null, 0, 0, s3
	s_delay_alu instid0(VALU_DEP_4) | instskip(SKIP_3) | instid1(VALU_DEP_4)
	v_lshlrev_b32_e32 v7, 2, v6
	v_lshlrev_b32_e32 v6, 1, v6
	v_add_co_u32 v45, vcc_lo, s22, v8
	v_add_co_u32 v33, s2, s22, v12
	v_add_co_u32 v51, s3, s20, v7
	s_delay_alu instid0(VALU_DEP_1)
	v_add_co_ci_u32_e64 v52, null, s21, 0, s3
	v_add_co_u32 v53, s3, s18, v7
	v_add_co_ci_u32_e32 v46, vcc_lo, s23, v9, vcc_lo
	v_add_co_ci_u32_e64 v54, null, s19, 0, s3
	v_add_co_u32 v55, s3, s22, v6
	v_add_co_u32 v47, vcc_lo, s34, v8
	v_add_co_ci_u32_e64 v34, s2, s23, v13, s2
	v_add_co_ci_u32_e64 v56, null, s23, 0, s3
	v_add_co_u32 v57, s3, s34, v6
	v_add_co_u32 v35, s2, s34, v12
	v_add_co_ci_u32_e32 v48, vcc_lo, s35, v9, vcc_lo
	v_add_co_u32 v49, vcc_lo, s4, v8
	v_add_co_ci_u32_e64 v58, null, s35, 0, s3
	v_add_co_u32 v59, s3, s4, v6
	v_add_co_ci_u32_e64 v36, s2, s35, v13, s2
	v_add_co_ci_u32_e64 v28, null, s5, 0, s6
	v_cmp_neq_f32_e64 s2, 0, v39
	v_mul_f32_e32 v39, v14, v39
	v_add_co_ci_u32_e32 v50, vcc_lo, s5, v9, vcc_lo
	v_add_co_ci_u32_e64 v60, null, s5, 0, s3
	v_dual_mov_b32 v7, v1 :: v_dual_mov_b32 v6, v0
	s_mul_i32 s34, s38, 3
	s_lshl_b32 s35, s38, 4
	s_mov_b64 s[18:19], s[16:17]
	s_branch .LBB0_13
.LBB0_11:                               ;   in Loop: Header=BB0_13 Depth=1
	s_or_b32 exec_lo, exec_lo, s3
.LBB0_12:                               ;   in Loop: Header=BB0_13 Depth=1
	v_add_co_u32 v19, vcc_lo, v19, s35
	v_add_co_ci_u32_e32 v20, vcc_lo, 0, v20, vcc_lo
	v_add_co_u32 v21, vcc_lo, v21, s35
	v_add_co_ci_u32_e32 v22, vcc_lo, 0, v22, vcc_lo
	;; [unrolled: 2-line block ×19, first 2 shown]
	v_cmp_lt_i64_e64 s3, s[18:19], s[8:9]
	v_cmp_gt_u64_e64 s4, 0x10000, s[18:19]
	v_add_co_u32 v57, vcc_lo, v57, s41
	v_add_co_ci_u32_e32 v58, vcc_lo, 0, v58, vcc_lo
	v_add_co_u32 v59, vcc_lo, v59, s41
	v_add_co_ci_u32_e32 v60, vcc_lo, 0, v60, vcc_lo
	s_and_b32 s3, s3, s4
	s_add_u32 s18, s18, s16
	s_addc_u32 s19, s19, 0
	s_and_b32 vcc_lo, exec_lo, s3
	s_cbranch_vccz .LBB0_85
.LBB0_13:                               ; =>This Inner Loop Header: Depth=1
	v_cmp_gt_u64_e64 s3, s[36:37], v[6:7]
	v_dual_mov_b32 v70, 0 :: v_dual_mov_b32 v61, 0
	v_dual_mov_b32 v75, 0 :: v_dual_mov_b32 v76, 0
	s_delay_alu instid0(VALU_DEP_3)
	s_and_saveexec_b32 s4, s3
	s_cbranch_execz .LBB0_15
; %bb.14:                               ;   in Loop: Header=BB0_13 Depth=1
	v_add_co_u32 v8, vcc_lo, v19, s10
	v_add_co_ci_u32_e32 v9, vcc_lo, s11, v20, vcc_lo
	v_add_co_u32 v10, vcc_lo, v23, s14
	v_add_co_ci_u32_e32 v11, vcc_lo, s15, v24, vcc_lo
	;; [unrolled: 2-line block ×4, first 2 shown]
	global_load_u16 v10, v[10:11], off
	global_load_u16 v11, v[12:13], off
	global_load_b32 v70, v[8:9], off
	global_load_b32 v61, v[61:62], off
	s_waitcnt vmcnt(3)
	v_lshlrev_b32_e32 v75, 16, v10
	s_waitcnt vmcnt(2)
	v_lshlrev_b32_e32 v76, 16, v11
.LBB0_15:                               ;   in Loop: Header=BB0_13 Depth=1
	s_or_b32 exec_lo, exec_lo, s4
	v_add_co_u32 v8, vcc_lo, s38, v6
	v_add_co_ci_u32_e32 v9, vcc_lo, 0, v7, vcc_lo
	v_dual_mov_b32 v72, 0 :: v_dual_mov_b32 v67, 0
	v_mov_b32_e32 v62, 0
	s_delay_alu instid0(VALU_DEP_3) | instskip(NEXT) | instid1(VALU_DEP_1)
	v_cmp_gt_u64_e64 s4, s[36:37], v[8:9]
	s_and_saveexec_b32 s5, s4
	s_cbranch_execz .LBB0_17
; %bb.16:                               ;   in Loop: Header=BB0_13 Depth=1
	v_add_co_u32 v10, vcc_lo, v51, s10
	v_add_co_ci_u32_e32 v11, vcc_lo, s11, v52, vcc_lo
	v_add_co_u32 v12, vcc_lo, v53, s10
	v_add_co_ci_u32_e32 v13, vcc_lo, s11, v54, vcc_lo
	global_load_b32 v67, v[10:11], off
	global_load_b32 v62, v[12:13], off
.LBB0_17:                               ;   in Loop: Header=BB0_13 Depth=1
	s_or_b32 exec_lo, exec_lo, s5
	v_mov_b32_e32 v74, 0
	s_and_saveexec_b32 s5, s4
	s_cbranch_execz .LBB0_19
; %bb.18:                               ;   in Loop: Header=BB0_13 Depth=1
	v_add_co_u32 v10, vcc_lo, v55, s14
	v_add_co_ci_u32_e32 v11, vcc_lo, s15, v56, vcc_lo
	v_add_co_u32 v12, vcc_lo, v57, s14
	v_add_co_ci_u32_e32 v13, vcc_lo, s15, v58, vcc_lo
	global_load_u16 v10, v[10:11], off
	global_load_u16 v11, v[12:13], off
	s_waitcnt vmcnt(1)
	v_lshlrev_b32_e32 v72, 16, v10
	s_waitcnt vmcnt(0)
	v_lshlrev_b32_e32 v74, 16, v11
.LBB0_19:                               ;   in Loop: Header=BB0_13 Depth=1
	s_or_b32 exec_lo, exec_lo, s5
	v_add_co_u32 v10, vcc_lo, s39, v6
	v_add_co_ci_u32_e32 v11, vcc_lo, 0, v7, vcc_lo
	v_dual_mov_b32 v69, 0 :: v_dual_mov_b32 v66, 0
	v_mov_b32_e32 v63, 0
	s_delay_alu instid0(VALU_DEP_3) | instskip(NEXT) | instid1(VALU_DEP_1)
	v_cmp_gt_u64_e64 s5, s[36:37], v[10:11]
	s_and_saveexec_b32 s6, s5
	s_cbranch_execz .LBB0_21
; %bb.20:                               ;   in Loop: Header=BB0_13 Depth=1
	v_add_co_u32 v12, vcc_lo, v41, s10
	v_add_co_ci_u32_e32 v13, vcc_lo, s11, v42, vcc_lo
	v_add_co_u32 v63, vcc_lo, v43, s10
	v_add_co_ci_u32_e32 v64, vcc_lo, s11, v44, vcc_lo
	global_load_b32 v66, v[12:13], off
	global_load_b32 v63, v[63:64], off
.LBB0_21:                               ;   in Loop: Header=BB0_13 Depth=1
	s_or_b32 exec_lo, exec_lo, s6
	v_mov_b32_e32 v73, 0
	s_and_saveexec_b32 s6, s5
	s_cbranch_execz .LBB0_23
; %bb.22:                               ;   in Loop: Header=BB0_13 Depth=1
	v_add_co_u32 v12, vcc_lo, v45, s14
	v_add_co_ci_u32_e32 v13, vcc_lo, s15, v46, vcc_lo
	v_add_co_u32 v64, vcc_lo, v47, s14
	v_add_co_ci_u32_e32 v65, vcc_lo, s15, v48, vcc_lo
	global_load_u16 v12, v[12:13], off
	global_load_u16 v13, v[64:65], off
	s_waitcnt vmcnt(1)
	v_lshlrev_b32_e32 v69, 16, v12
	s_waitcnt vmcnt(0)
	v_lshlrev_b32_e32 v73, 16, v13
.LBB0_23:                               ;   in Loop: Header=BB0_13 Depth=1
	;; [unrolled: 33-line block ×3, first 2 shown]
	s_or_b32 exec_lo, exec_lo, s7
	v_cmp_gt_i64_e32 vcc_lo, s[8:9], v[6:7]
	v_cmp_gt_u64_e64 s7, 0x10000, v[6:7]
	v_dual_mov_b32 v79, 0 :: v_dual_mov_b32 v80, 0
	s_delay_alu instid0(VALU_DEP_2) | instskip(NEXT) | instid1(SALU_CYCLE_1)
	s_and_b32 s17, vcc_lo, s7
	s_and_saveexec_b32 s7, s17
	s_cbranch_execz .LBB0_29
; %bb.28:                               ;   in Loop: Header=BB0_13 Depth=1
	v_add_co_u32 v77, vcc_lo, v27, s14
	v_add_co_ci_u32_e32 v78, vcc_lo, s15, v28, vcc_lo
	global_load_u16 v77, v[77:78], off
	s_waitcnt vmcnt(0)
	v_lshlrev_b32_e32 v80, 16, v77
.LBB0_29:                               ;   in Loop: Header=BB0_13 Depth=1
	s_or_b32 exec_lo, exec_lo, s7
	v_cmp_gt_i64_e32 vcc_lo, s[8:9], v[8:9]
	v_cmp_gt_u64_e64 s7, 0x10000, v[8:9]
	s_delay_alu instid0(VALU_DEP_1) | instskip(NEXT) | instid1(SALU_CYCLE_1)
	s_and_b32 s17, vcc_lo, s7
	s_and_saveexec_b32 s7, s17
	s_cbranch_execz .LBB0_31
; %bb.30:                               ;   in Loop: Header=BB0_13 Depth=1
	v_add_co_u32 v8, vcc_lo, v59, s14
	v_add_co_ci_u32_e32 v9, vcc_lo, s15, v60, vcc_lo
	global_load_u16 v8, v[8:9], off
	s_waitcnt vmcnt(0)
	v_lshlrev_b32_e32 v79, 16, v8
.LBB0_31:                               ;   in Loop: Header=BB0_13 Depth=1
	s_or_b32 exec_lo, exec_lo, s7
	v_cmp_gt_i64_e32 vcc_lo, s[8:9], v[10:11]
	v_cmp_gt_u64_e64 s7, 0x10000, v[10:11]
	v_dual_mov_b32 v11, 0 :: v_dual_mov_b32 v78, 0
	s_delay_alu instid0(VALU_DEP_2) | instskip(NEXT) | instid1(SALU_CYCLE_1)
	s_and_b32 s17, vcc_lo, s7
	s_and_saveexec_b32 s7, s17
	s_cbranch_execz .LBB0_33
; %bb.32:                               ;   in Loop: Header=BB0_13 Depth=1
	v_add_co_u32 v8, vcc_lo, v49, s14
	v_add_co_ci_u32_e32 v9, vcc_lo, s15, v50, vcc_lo
	global_load_u16 v8, v[8:9], off
	s_waitcnt vmcnt(0)
	v_lshlrev_b32_e32 v78, 16, v8
.LBB0_33:                               ;   in Loop: Header=BB0_13 Depth=1
	s_or_b32 exec_lo, exec_lo, s7
	v_cmp_gt_i64_e32 vcc_lo, s[8:9], v[12:13]
	v_cmp_gt_u64_e64 s7, 0x10000, v[12:13]
	s_delay_alu instid0(VALU_DEP_1) | instskip(NEXT) | instid1(SALU_CYCLE_1)
	s_and_b32 s17, vcc_lo, s7
	s_and_saveexec_b32 s7, s17
	s_cbranch_execz .LBB0_35
; %bb.34:                               ;   in Loop: Header=BB0_13 Depth=1
	v_add_co_u32 v8, vcc_lo, v37, s14
	v_add_co_ci_u32_e32 v9, vcc_lo, s15, v38, vcc_lo
	global_load_u16 v8, v[8:9], off
	s_waitcnt vmcnt(0)
	v_lshlrev_b32_e32 v11, 16, v8
.LBB0_35:                               ;   in Loop: Header=BB0_13 Depth=1
	s_or_b32 exec_lo, exec_lo, s7
	s_delay_alu instid0(SALU_CYCLE_1)
	s_and_b32 vcc_lo, exec_lo, s40
	s_cbranch_vccz .LBB0_37
; %bb.36:                               ;   in Loop: Header=BB0_13 Depth=1
	global_load_b32 v8, v1, s[12:13]
	s_waitcnt vmcnt(0)
	v_div_scale_f32 v9, null, v8, v8, v61
	s_delay_alu instid0(VALU_DEP_1) | instskip(SKIP_2) | instid1(VALU_DEP_1)
	v_rcp_f32_e32 v10, v9
	s_waitcnt_depctr 0xfff
	v_fma_f32 v12, -v9, v10, 1.0
	v_fmac_f32_e32 v10, v12, v10
	v_div_scale_f32 v12, vcc_lo, v61, v8, v61
	s_delay_alu instid0(VALU_DEP_1) | instskip(NEXT) | instid1(VALU_DEP_1)
	v_mul_f32_e32 v13, v12, v10
	v_fma_f32 v77, -v9, v13, v12
	s_delay_alu instid0(VALU_DEP_1) | instskip(NEXT) | instid1(VALU_DEP_1)
	v_fmac_f32_e32 v13, v77, v10
	v_fma_f32 v9, -v9, v13, v12
	s_delay_alu instid0(VALU_DEP_1) | instskip(NEXT) | instid1(VALU_DEP_1)
	v_div_fmas_f32 v9, v9, v10, v13
	v_div_fixup_f32 v61, v9, v8, v61
.LBB0_37:                               ;   in Loop: Header=BB0_13 Depth=1
	s_and_not1_b32 vcc_lo, exec_lo, s40
	s_cbranch_vccnz .LBB0_39
; %bb.38:                               ;   in Loop: Header=BB0_13 Depth=1
	global_load_b32 v8, v1, s[12:13]
	s_waitcnt vmcnt(0)
	v_div_scale_f32 v9, null, v8, v8, v62
	s_delay_alu instid0(VALU_DEP_1) | instskip(SKIP_2) | instid1(VALU_DEP_1)
	v_rcp_f32_e32 v10, v9
	s_waitcnt_depctr 0xfff
	v_fma_f32 v12, -v9, v10, 1.0
	v_fmac_f32_e32 v10, v12, v10
	v_div_scale_f32 v12, vcc_lo, v62, v8, v62
	s_delay_alu instid0(VALU_DEP_1) | instskip(NEXT) | instid1(VALU_DEP_1)
	v_mul_f32_e32 v13, v12, v10
	v_fma_f32 v77, -v9, v13, v12
	s_delay_alu instid0(VALU_DEP_1) | instskip(NEXT) | instid1(VALU_DEP_1)
	v_fmac_f32_e32 v13, v77, v10
	v_fma_f32 v9, -v9, v13, v12
	s_delay_alu instid0(VALU_DEP_1) | instskip(NEXT) | instid1(VALU_DEP_1)
	v_div_fmas_f32 v9, v9, v10, v13
	v_div_fixup_f32 v62, v9, v8, v62
.LBB0_39:                               ;   in Loop: Header=BB0_13 Depth=1
	s_and_not1_b32 vcc_lo, exec_lo, s40
	s_cbranch_vccnz .LBB0_41
; %bb.40:                               ;   in Loop: Header=BB0_13 Depth=1
	global_load_b32 v8, v1, s[12:13]
	s_waitcnt vmcnt(0)
	v_div_scale_f32 v9, null, v8, v8, v63
	s_delay_alu instid0(VALU_DEP_1) | instskip(SKIP_2) | instid1(VALU_DEP_1)
	v_rcp_f32_e32 v10, v9
	s_waitcnt_depctr 0xfff
	v_fma_f32 v12, -v9, v10, 1.0
	v_fmac_f32_e32 v10, v12, v10
	v_div_scale_f32 v12, vcc_lo, v63, v8, v63
	s_delay_alu instid0(VALU_DEP_1) | instskip(NEXT) | instid1(VALU_DEP_1)
	v_mul_f32_e32 v13, v12, v10
	v_fma_f32 v77, -v9, v13, v12
	s_delay_alu instid0(VALU_DEP_1) | instskip(NEXT) | instid1(VALU_DEP_1)
	v_fmac_f32_e32 v13, v77, v10
	v_fma_f32 v9, -v9, v13, v12
	s_delay_alu instid0(VALU_DEP_1) | instskip(NEXT) | instid1(VALU_DEP_1)
	v_div_fmas_f32 v9, v9, v10, v13
	v_div_fixup_f32 v63, v9, v8, v63
.LBB0_41:                               ;   in Loop: Header=BB0_13 Depth=1
	;; [unrolled: 22-line block ×3, first 2 shown]
	s_waitcnt vmcnt(0)
	v_cndmask_b32_e64 v8, v61, -v61, s24
	s_delay_alu instid0(VALU_DEP_1) | instskip(SKIP_2) | instid1(VALU_DEP_3)
	v_mul_f32_e32 v9, v8, v8
	v_fma_f32 v77, -v16, v8, v8
	v_max_f32_e32 v8, v80, v80
	v_fma_f32 v10, -v17, v9, v9
	s_delay_alu instid0(VALU_DEP_1) | instskip(NEXT) | instid1(VALU_DEP_1)
	v_dual_fmac_f32 v77, v16, v75 :: v_dual_fmac_f32 v10, v17, v76
	v_max_f32_e32 v8, v8, v10
	s_and_saveexec_b32 s17, s3
	s_cbranch_execz .LBB0_45
; %bb.44:                               ;   in Loop: Header=BB0_13 Depth=1
	s_delay_alu instid0(VALU_DEP_1) | instskip(SKIP_1) | instid1(VALU_DEP_1)
	v_cmp_gt_f32_e32 vcc_lo, 0xf800000, v8
	v_mul_f32_e32 v9, 0x4f800000, v8
	v_cndmask_b32_e32 v9, v8, v9, vcc_lo
	s_delay_alu instid0(VALU_DEP_1) | instskip(SKIP_3) | instid1(VALU_DEP_2)
	v_sqrt_f32_e32 v12, v9
	s_waitcnt_depctr 0xfff
	v_add_nc_u32_e32 v13, -1, v12
	v_add_nc_u32_e32 v75, 1, v12
	v_fma_f32 v76, -v13, v12, v9
	s_delay_alu instid0(VALU_DEP_2) | instskip(NEXT) | instid1(VALU_DEP_2)
	v_fma_f32 v80, -v75, v12, v9
	v_cmp_ge_f32_e64 s7, 0, v76
	s_delay_alu instid0(VALU_DEP_1) | instskip(NEXT) | instid1(VALU_DEP_3)
	v_cndmask_b32_e64 v12, v12, v13, s7
	v_cmp_lt_f32_e64 s7, 0, v80
	s_delay_alu instid0(VALU_DEP_1) | instskip(NEXT) | instid1(VALU_DEP_1)
	v_cndmask_b32_e64 v12, v12, v75, s7
	v_mul_f32_e32 v13, 0x37800000, v12
	s_delay_alu instid0(VALU_DEP_1) | instskip(SKIP_1) | instid1(VALU_DEP_2)
	v_cndmask_b32_e32 v12, v12, v13, vcc_lo
	v_cmp_class_f32_e64 vcc_lo, v9, 0x260
	v_cndmask_b32_e32 v9, v12, v9, vcc_lo
	s_delay_alu instid0(VALU_DEP_1) | instskip(SKIP_1) | instid1(VALU_DEP_2)
	v_div_scale_f32 v12, null, v15, v15, v9
	v_div_scale_f32 v76, vcc_lo, v9, v15, v9
	v_rcp_f32_e32 v13, v12
	s_waitcnt_depctr 0xfff
	v_fma_f32 v75, -v12, v13, 1.0
	s_delay_alu instid0(VALU_DEP_1) | instskip(NEXT) | instid1(VALU_DEP_1)
	v_fmac_f32_e32 v13, v75, v13
	v_mul_f32_e32 v75, v76, v13
	s_delay_alu instid0(VALU_DEP_1) | instskip(NEXT) | instid1(VALU_DEP_1)
	v_fma_f32 v80, -v12, v75, v76
	v_fmac_f32_e32 v75, v80, v13
	s_delay_alu instid0(VALU_DEP_1) | instskip(NEXT) | instid1(VALU_DEP_1)
	v_fma_f32 v12, -v12, v75, v76
	v_div_fmas_f32 v12, v12, v13, v75
	s_delay_alu instid0(VALU_DEP_1) | instskip(NEXT) | instid1(VALU_DEP_1)
	v_div_fixup_f32 v9, v12, v15, v9
	v_dual_mul_f32 v12, v40, v77 :: v_dual_add_f32 v9, v9, v18
	s_delay_alu instid0(VALU_DEP_1) | instskip(SKIP_1) | instid1(VALU_DEP_2)
	v_div_scale_f32 v13, null, v9, v9, v12
	v_div_scale_f32 v80, vcc_lo, v12, v9, v12
	v_rcp_f32_e32 v75, v13
	s_waitcnt_depctr 0xfff
	v_fma_f32 v76, -v13, v75, 1.0
	s_delay_alu instid0(VALU_DEP_1) | instskip(NEXT) | instid1(VALU_DEP_1)
	v_fmac_f32_e32 v75, v76, v75
	v_mul_f32_e32 v76, v80, v75
	s_delay_alu instid0(VALU_DEP_1) | instskip(NEXT) | instid1(VALU_DEP_1)
	v_fma_f32 v81, -v13, v76, v80
	v_fmac_f32_e32 v76, v81, v75
	s_delay_alu instid0(VALU_DEP_1) | instskip(SKIP_1) | instid1(VALU_DEP_2)
	v_fma_f32 v13, -v13, v76, v80
	v_fma_f32 v80, -v39, v70, v70
	v_div_fmas_f32 v13, v13, v75, v76
	s_delay_alu instid0(VALU_DEP_2) | instskip(NEXT) | instid1(VALU_DEP_2)
	v_cndmask_b32_e64 v70, v70, v80, s2
	v_div_fixup_f32 v9, v13, v9, v12
	v_add_co_u32 v12, vcc_lo, v19, s10
	v_add_co_ci_u32_e32 v13, vcc_lo, s11, v20, vcc_lo
	s_delay_alu instid0(VALU_DEP_3)
	v_sub_f32_e32 v9, v70, v9
	global_store_b32 v[12:13], v9, off
.LBB0_45:                               ;   in Loop: Header=BB0_13 Depth=1
	s_or_b32 exec_lo, exec_lo, s17
	v_cndmask_b32_e64 v9, v62, -v62, s24
	s_delay_alu instid0(VALU_DEP_1) | instskip(SKIP_2) | instid1(VALU_DEP_3)
	v_mul_f32_e32 v12, v9, v9
	v_fma_f32 v70, -v16, v9, v9
	v_max_f32_e32 v9, v79, v79
	v_fma_f32 v13, -v17, v12, v12
	s_delay_alu instid0(VALU_DEP_1) | instskip(NEXT) | instid1(VALU_DEP_1)
	v_dual_fmac_f32 v70, v16, v72 :: v_dual_fmac_f32 v13, v17, v74
	v_max_f32_e32 v9, v9, v13
	s_and_saveexec_b32 s17, s4
	s_cbranch_execz .LBB0_47
; %bb.46:                               ;   in Loop: Header=BB0_13 Depth=1
	s_delay_alu instid0(VALU_DEP_1) | instskip(SKIP_1) | instid1(VALU_DEP_2)
	v_mul_f32_e32 v12, 0x4f800000, v9
	v_cmp_gt_f32_e32 vcc_lo, 0xf800000, v9
	v_cndmask_b32_e32 v12, v9, v12, vcc_lo
	s_delay_alu instid0(VALU_DEP_1) | instskip(SKIP_3) | instid1(VALU_DEP_2)
	v_sqrt_f32_e32 v72, v12
	s_waitcnt_depctr 0xfff
	v_add_nc_u32_e32 v74, -1, v72
	v_add_nc_u32_e32 v75, 1, v72
	v_fma_f32 v76, -v74, v72, v12
	s_delay_alu instid0(VALU_DEP_2) | instskip(NEXT) | instid1(VALU_DEP_2)
	v_fma_f32 v79, -v75, v72, v12
	v_cmp_ge_f32_e64 s7, 0, v76
	s_delay_alu instid0(VALU_DEP_1) | instskip(NEXT) | instid1(VALU_DEP_3)
	v_cndmask_b32_e64 v72, v72, v74, s7
	v_cmp_lt_f32_e64 s7, 0, v79
	s_delay_alu instid0(VALU_DEP_1) | instskip(NEXT) | instid1(VALU_DEP_1)
	v_cndmask_b32_e64 v72, v72, v75, s7
	v_mul_f32_e32 v74, 0x37800000, v72
	s_delay_alu instid0(VALU_DEP_1) | instskip(SKIP_1) | instid1(VALU_DEP_2)
	v_cndmask_b32_e32 v72, v72, v74, vcc_lo
	v_cmp_class_f32_e64 vcc_lo, v12, 0x260
	v_cndmask_b32_e32 v12, v72, v12, vcc_lo
	s_delay_alu instid0(VALU_DEP_1) | instskip(SKIP_1) | instid1(VALU_DEP_2)
	v_div_scale_f32 v72, null, v15, v15, v12
	v_div_scale_f32 v76, vcc_lo, v12, v15, v12
	v_rcp_f32_e32 v74, v72
	s_waitcnt_depctr 0xfff
	v_fma_f32 v75, -v72, v74, 1.0
	s_delay_alu instid0(VALU_DEP_1) | instskip(NEXT) | instid1(VALU_DEP_1)
	v_fmac_f32_e32 v74, v75, v74
	v_mul_f32_e32 v75, v76, v74
	s_delay_alu instid0(VALU_DEP_1) | instskip(NEXT) | instid1(VALU_DEP_1)
	v_fma_f32 v79, -v72, v75, v76
	v_fmac_f32_e32 v75, v79, v74
	s_delay_alu instid0(VALU_DEP_1) | instskip(NEXT) | instid1(VALU_DEP_1)
	v_fma_f32 v72, -v72, v75, v76
	v_div_fmas_f32 v72, v72, v74, v75
	s_delay_alu instid0(VALU_DEP_1) | instskip(SKIP_1) | instid1(VALU_DEP_2)
	v_div_fixup_f32 v12, v72, v15, v12
	v_mul_f32_e32 v72, v40, v70
	v_add_f32_e32 v12, v12, v18
	s_delay_alu instid0(VALU_DEP_1) | instskip(SKIP_1) | instid1(VALU_DEP_2)
	v_div_scale_f32 v74, null, v12, v12, v72
	v_div_scale_f32 v79, vcc_lo, v72, v12, v72
	v_rcp_f32_e32 v75, v74
	s_waitcnt_depctr 0xfff
	v_fma_f32 v76, -v74, v75, 1.0
	s_delay_alu instid0(VALU_DEP_1) | instskip(NEXT) | instid1(VALU_DEP_1)
	v_fmac_f32_e32 v75, v76, v75
	v_mul_f32_e32 v76, v79, v75
	s_delay_alu instid0(VALU_DEP_1) | instskip(NEXT) | instid1(VALU_DEP_1)
	v_fma_f32 v80, -v74, v76, v79
	v_fmac_f32_e32 v76, v80, v75
	s_delay_alu instid0(VALU_DEP_1) | instskip(SKIP_1) | instid1(VALU_DEP_2)
	v_fma_f32 v74, -v74, v76, v79
	v_fma_f32 v79, -v39, v67, v67
	v_div_fmas_f32 v74, v74, v75, v76
	s_delay_alu instid0(VALU_DEP_2) | instskip(NEXT) | instid1(VALU_DEP_2)
	v_cndmask_b32_e64 v67, v67, v79, s2
	v_div_fixup_f32 v12, v74, v12, v72
	v_add_co_u32 v74, vcc_lo, v51, s10
	v_add_co_ci_u32_e32 v75, vcc_lo, s11, v52, vcc_lo
	s_delay_alu instid0(VALU_DEP_3)
	v_sub_f32_e32 v12, v67, v12
	global_store_b32 v[74:75], v12, off
.LBB0_47:                               ;   in Loop: Header=BB0_13 Depth=1
	s_or_b32 exec_lo, exec_lo, s17
	v_cndmask_b32_e64 v12, v63, -v63, s24
	s_delay_alu instid0(VALU_DEP_1) | instskip(SKIP_2) | instid1(VALU_DEP_3)
	v_mul_f32_e32 v67, v12, v12
	v_fma_f32 v72, -v16, v12, v12
	v_max_f32_e32 v12, v78, v78
	v_fma_f32 v67, -v17, v67, v67
	s_delay_alu instid0(VALU_DEP_3) | instskip(NEXT) | instid1(VALU_DEP_2)
	v_fmac_f32_e32 v72, v16, v69
	v_fmac_f32_e32 v67, v17, v73
	s_delay_alu instid0(VALU_DEP_1)
	v_max_f32_e32 v12, v12, v67
	s_and_saveexec_b32 s17, s5
	s_cbranch_execz .LBB0_49
; %bb.48:                               ;   in Loop: Header=BB0_13 Depth=1
	s_delay_alu instid0(VALU_DEP_1) | instskip(SKIP_1) | instid1(VALU_DEP_2)
	v_mul_f32_e32 v69, 0x4f800000, v12
	v_cmp_gt_f32_e32 vcc_lo, 0xf800000, v12
	v_cndmask_b32_e32 v69, v12, v69, vcc_lo
	s_delay_alu instid0(VALU_DEP_1) | instskip(SKIP_3) | instid1(VALU_DEP_2)
	v_sqrt_f32_e32 v73, v69
	s_waitcnt_depctr 0xfff
	v_add_nc_u32_e32 v74, -1, v73
	v_add_nc_u32_e32 v75, 1, v73
	v_fma_f32 v76, -v74, v73, v69
	s_delay_alu instid0(VALU_DEP_2) | instskip(NEXT) | instid1(VALU_DEP_2)
	v_fma_f32 v78, -v75, v73, v69
	v_cmp_ge_f32_e64 s7, 0, v76
	s_delay_alu instid0(VALU_DEP_1) | instskip(NEXT) | instid1(VALU_DEP_3)
	v_cndmask_b32_e64 v73, v73, v74, s7
	v_cmp_lt_f32_e64 s7, 0, v78
	s_delay_alu instid0(VALU_DEP_1) | instskip(NEXT) | instid1(VALU_DEP_1)
	v_cndmask_b32_e64 v73, v73, v75, s7
	v_mul_f32_e32 v74, 0x37800000, v73
	s_delay_alu instid0(VALU_DEP_1) | instskip(SKIP_1) | instid1(VALU_DEP_2)
	v_cndmask_b32_e32 v73, v73, v74, vcc_lo
	v_cmp_class_f32_e64 vcc_lo, v69, 0x260
	v_cndmask_b32_e32 v69, v73, v69, vcc_lo
	s_delay_alu instid0(VALU_DEP_1) | instskip(SKIP_1) | instid1(VALU_DEP_2)
	v_div_scale_f32 v73, null, v15, v15, v69
	v_div_scale_f32 v76, vcc_lo, v69, v15, v69
	v_rcp_f32_e32 v74, v73
	s_waitcnt_depctr 0xfff
	v_fma_f32 v75, -v73, v74, 1.0
	s_delay_alu instid0(VALU_DEP_1) | instskip(NEXT) | instid1(VALU_DEP_1)
	v_fmac_f32_e32 v74, v75, v74
	v_mul_f32_e32 v75, v76, v74
	s_delay_alu instid0(VALU_DEP_1) | instskip(NEXT) | instid1(VALU_DEP_1)
	v_fma_f32 v78, -v73, v75, v76
	v_fmac_f32_e32 v75, v78, v74
	s_delay_alu instid0(VALU_DEP_1) | instskip(NEXT) | instid1(VALU_DEP_1)
	v_fma_f32 v73, -v73, v75, v76
	v_div_fmas_f32 v73, v73, v74, v75
	s_delay_alu instid0(VALU_DEP_1) | instskip(SKIP_1) | instid1(VALU_DEP_2)
	v_div_fixup_f32 v69, v73, v15, v69
	v_mul_f32_e32 v73, v40, v72
	v_add_f32_e32 v69, v69, v18
	s_delay_alu instid0(VALU_DEP_1) | instskip(SKIP_1) | instid1(VALU_DEP_2)
	v_div_scale_f32 v74, null, v69, v69, v73
	v_div_scale_f32 v78, vcc_lo, v73, v69, v73
	v_rcp_f32_e32 v75, v74
	s_waitcnt_depctr 0xfff
	v_fma_f32 v76, -v74, v75, 1.0
	s_delay_alu instid0(VALU_DEP_1) | instskip(NEXT) | instid1(VALU_DEP_1)
	v_fmac_f32_e32 v75, v76, v75
	v_mul_f32_e32 v76, v78, v75
	s_delay_alu instid0(VALU_DEP_1) | instskip(NEXT) | instid1(VALU_DEP_1)
	v_fma_f32 v79, -v74, v76, v78
	v_fmac_f32_e32 v76, v79, v75
	s_delay_alu instid0(VALU_DEP_1) | instskip(SKIP_1) | instid1(VALU_DEP_2)
	v_fma_f32 v74, -v74, v76, v78
	v_fma_f32 v78, -v39, v66, v66
	v_div_fmas_f32 v74, v74, v75, v76
	s_delay_alu instid0(VALU_DEP_2) | instskip(NEXT) | instid1(VALU_DEP_2)
	v_cndmask_b32_e64 v66, v66, v78, s2
	v_div_fixup_f32 v69, v74, v69, v73
	v_add_co_u32 v73, vcc_lo, v41, s10
	v_add_co_ci_u32_e32 v74, vcc_lo, s11, v42, vcc_lo
	s_delay_alu instid0(VALU_DEP_3)
	v_sub_f32_e32 v66, v66, v69
	global_store_b32 v[73:74], v66, off
.LBB0_49:                               ;   in Loop: Header=BB0_13 Depth=1
	s_or_b32 exec_lo, exec_lo, s17
	v_cndmask_b32_e64 v69, v64, -v64, s24
	s_delay_alu instid0(VALU_DEP_1) | instskip(SKIP_1) | instid1(VALU_DEP_2)
	v_dual_max_f32 v11, v11, v11 :: v_dual_mul_f32 v66, v69, v69
	v_fma_f32 v69, -v16, v69, v69
	v_fma_f32 v66, -v17, v66, v66
	s_delay_alu instid0(VALU_DEP_1) | instskip(NEXT) | instid1(VALU_DEP_1)
	v_dual_fmac_f32 v69, v16, v68 :: v_dual_fmac_f32 v66, v17, v71
	v_max_f32_e32 v11, v11, v66
	s_and_saveexec_b32 s17, s6
	s_cbranch_execnz .LBB0_63
; %bb.50:                               ;   in Loop: Header=BB0_13 Depth=1
	s_or_b32 exec_lo, exec_lo, s17
	s_and_saveexec_b32 s7, s3
	s_cbranch_execnz .LBB0_64
.LBB0_51:                               ;   in Loop: Header=BB0_13 Depth=1
	s_or_b32 exec_lo, exec_lo, s7
	s_and_saveexec_b32 s7, s4
	s_cbranch_execnz .LBB0_65
.LBB0_52:                               ;   in Loop: Header=BB0_13 Depth=1
	s_or_b32 exec_lo, exec_lo, s7
	s_and_saveexec_b32 s7, s5
	s_cbranch_execnz .LBB0_66
.LBB0_53:                               ;   in Loop: Header=BB0_13 Depth=1
	s_or_b32 exec_lo, exec_lo, s7
	s_and_saveexec_b32 s7, s6
	s_cbranch_execnz .LBB0_67
.LBB0_54:                               ;   in Loop: Header=BB0_13 Depth=1
	s_or_b32 exec_lo, exec_lo, s7
	s_and_saveexec_b32 s7, s3
	s_cbranch_execnz .LBB0_68
.LBB0_55:                               ;   in Loop: Header=BB0_13 Depth=1
	s_or_b32 exec_lo, exec_lo, s7
	s_and_saveexec_b32 s7, s4
	s_cbranch_execnz .LBB0_69
.LBB0_56:                               ;   in Loop: Header=BB0_13 Depth=1
	s_or_b32 exec_lo, exec_lo, s7
	s_and_saveexec_b32 s7, s5
	s_cbranch_execnz .LBB0_70
.LBB0_57:                               ;   in Loop: Header=BB0_13 Depth=1
	s_or_b32 exec_lo, exec_lo, s7
	s_and_saveexec_b32 s7, s6
	s_cbranch_execnz .LBB0_71
.LBB0_58:                               ;   in Loop: Header=BB0_13 Depth=1
	s_or_b32 exec_lo, exec_lo, s7
	s_and_saveexec_b32 s7, s3
	s_cbranch_execnz .LBB0_72
.LBB0_59:                               ;   in Loop: Header=BB0_13 Depth=1
	s_or_b32 exec_lo, exec_lo, s7
	s_and_saveexec_b32 s7, s4
	s_cbranch_execnz .LBB0_73
.LBB0_60:                               ;   in Loop: Header=BB0_13 Depth=1
	s_or_b32 exec_lo, exec_lo, s7
	s_and_saveexec_b32 s7, s5
	s_cbranch_execnz .LBB0_74
.LBB0_61:                               ;   in Loop: Header=BB0_13 Depth=1
	s_or_b32 exec_lo, exec_lo, s7
	s_and_saveexec_b32 s7, s6
	s_cbranch_execnz .LBB0_75
.LBB0_62:                               ;   in Loop: Header=BB0_13 Depth=1
	s_or_b32 exec_lo, exec_lo, s7
	s_delay_alu instid0(SALU_CYCLE_1)
	s_and_b32 vcc_lo, exec_lo, s40
	s_cbranch_vccnz .LBB0_76
	s_branch .LBB0_12
.LBB0_63:                               ;   in Loop: Header=BB0_13 Depth=1
	s_delay_alu instid0(VALU_DEP_1) | instskip(SKIP_1) | instid1(VALU_DEP_1)
	v_cmp_gt_f32_e32 vcc_lo, 0xf800000, v11
	v_mul_f32_e32 v68, 0x4f800000, v11
	v_cndmask_b32_e32 v68, v11, v68, vcc_lo
	s_delay_alu instid0(VALU_DEP_1) | instskip(SKIP_3) | instid1(VALU_DEP_2)
	v_sqrt_f32_e32 v71, v68
	s_waitcnt_depctr 0xfff
	v_add_nc_u32_e32 v73, -1, v71
	v_add_nc_u32_e32 v74, 1, v71
	v_fma_f32 v75, -v73, v71, v68
	s_delay_alu instid0(VALU_DEP_2) | instskip(NEXT) | instid1(VALU_DEP_2)
	v_fma_f32 v76, -v74, v71, v68
	v_cmp_ge_f32_e64 s7, 0, v75
	s_delay_alu instid0(VALU_DEP_1) | instskip(NEXT) | instid1(VALU_DEP_3)
	v_cndmask_b32_e64 v71, v71, v73, s7
	v_cmp_lt_f32_e64 s7, 0, v76
	s_delay_alu instid0(VALU_DEP_1) | instskip(NEXT) | instid1(VALU_DEP_1)
	v_cndmask_b32_e64 v71, v71, v74, s7
	v_mul_f32_e32 v73, 0x37800000, v71
	s_delay_alu instid0(VALU_DEP_1) | instskip(SKIP_1) | instid1(VALU_DEP_2)
	v_cndmask_b32_e32 v71, v71, v73, vcc_lo
	v_cmp_class_f32_e64 vcc_lo, v68, 0x260
	v_cndmask_b32_e32 v68, v71, v68, vcc_lo
	s_delay_alu instid0(VALU_DEP_1) | instskip(SKIP_1) | instid1(VALU_DEP_2)
	v_div_scale_f32 v71, null, v15, v15, v68
	v_div_scale_f32 v75, vcc_lo, v68, v15, v68
	v_rcp_f32_e32 v73, v71
	s_waitcnt_depctr 0xfff
	v_fma_f32 v74, -v71, v73, 1.0
	s_delay_alu instid0(VALU_DEP_1) | instskip(NEXT) | instid1(VALU_DEP_1)
	v_fmac_f32_e32 v73, v74, v73
	v_mul_f32_e32 v74, v75, v73
	s_delay_alu instid0(VALU_DEP_1) | instskip(NEXT) | instid1(VALU_DEP_1)
	v_fma_f32 v76, -v71, v74, v75
	v_fmac_f32_e32 v74, v76, v73
	s_delay_alu instid0(VALU_DEP_1) | instskip(NEXT) | instid1(VALU_DEP_1)
	v_fma_f32 v71, -v71, v74, v75
	v_div_fmas_f32 v71, v71, v73, v74
	s_delay_alu instid0(VALU_DEP_1) | instskip(SKIP_1) | instid1(VALU_DEP_2)
	v_div_fixup_f32 v68, v71, v15, v68
	v_mul_f32_e32 v71, v40, v69
	v_add_f32_e32 v68, v68, v18
	s_delay_alu instid0(VALU_DEP_1) | instskip(SKIP_1) | instid1(VALU_DEP_2)
	v_div_scale_f32 v73, null, v68, v68, v71
	v_div_scale_f32 v76, vcc_lo, v71, v68, v71
	v_rcp_f32_e32 v74, v73
	s_waitcnt_depctr 0xfff
	v_fma_f32 v75, -v73, v74, 1.0
	s_delay_alu instid0(VALU_DEP_1) | instskip(NEXT) | instid1(VALU_DEP_1)
	v_fmac_f32_e32 v74, v75, v74
	v_mul_f32_e32 v75, v76, v74
	s_delay_alu instid0(VALU_DEP_1) | instskip(NEXT) | instid1(VALU_DEP_1)
	v_fma_f32 v78, -v73, v75, v76
	v_fmac_f32_e32 v75, v78, v74
	s_delay_alu instid0(VALU_DEP_1) | instskip(SKIP_1) | instid1(VALU_DEP_2)
	v_fma_f32 v73, -v73, v75, v76
	v_fma_f32 v76, -v39, v65, v65
	v_div_fmas_f32 v73, v73, v74, v75
	s_delay_alu instid0(VALU_DEP_2) | instskip(NEXT) | instid1(VALU_DEP_2)
	v_cndmask_b32_e64 v65, v65, v76, s2
	v_div_fixup_f32 v68, v73, v68, v71
	v_add_co_u32 v73, vcc_lo, v29, s10
	v_add_co_ci_u32_e32 v74, vcc_lo, s11, v30, vcc_lo
	s_delay_alu instid0(VALU_DEP_3)
	v_sub_f32_e32 v65, v65, v68
	global_store_b32 v[73:74], v65, off
	s_or_b32 exec_lo, exec_lo, s17
	s_and_saveexec_b32 s7, s3
	s_cbranch_execz .LBB0_51
.LBB0_64:                               ;   in Loop: Header=BB0_13 Depth=1
	v_bfe_u32 v65, v77, 16, 1
	v_cmp_o_f32_e32 vcc_lo, v77, v77
	s_delay_alu instid0(VALU_DEP_2) | instskip(NEXT) | instid1(VALU_DEP_1)
	v_add3_u32 v65, v77, v65, 0x7fff
	v_lshrrev_b32_e32 v65, 16, v65
	s_delay_alu instid0(VALU_DEP_1)
	v_cndmask_b32_e32 v65, 0x7fc0, v65, vcc_lo
	v_add_co_u32 v73, vcc_lo, v23, s14
	v_add_co_ci_u32_e32 v74, vcc_lo, s15, v24, vcc_lo
	global_store_b16 v[73:74], v65, off
	s_or_b32 exec_lo, exec_lo, s7
	s_and_saveexec_b32 s7, s4
	s_cbranch_execz .LBB0_52
.LBB0_65:                               ;   in Loop: Header=BB0_13 Depth=1
	v_bfe_u32 v65, v70, 16, 1
	v_cmp_o_f32_e32 vcc_lo, v70, v70
	s_delay_alu instid0(VALU_DEP_2) | instskip(NEXT) | instid1(VALU_DEP_1)
	v_add3_u32 v65, v70, v65, 0x7fff
	v_lshrrev_b32_e32 v65, 16, v65
	s_delay_alu instid0(VALU_DEP_1)
	v_cndmask_b32_e32 v65, 0x7fc0, v65, vcc_lo
	v_add_co_u32 v70, vcc_lo, v55, s14
	v_add_co_ci_u32_e32 v71, vcc_lo, s15, v56, vcc_lo
	global_store_b16 v[70:71], v65, off
	s_or_b32 exec_lo, exec_lo, s7
	s_and_saveexec_b32 s7, s5
	s_cbranch_execz .LBB0_53
.LBB0_66:                               ;   in Loop: Header=BB0_13 Depth=1
	v_bfe_u32 v65, v72, 16, 1
	v_cmp_o_f32_e32 vcc_lo, v72, v72
	s_delay_alu instid0(VALU_DEP_2) | instskip(NEXT) | instid1(VALU_DEP_1)
	v_add3_u32 v65, v72, v65, 0x7fff
	v_lshrrev_b32_e32 v65, 16, v65
	s_delay_alu instid0(VALU_DEP_1)
	v_cndmask_b32_e32 v65, 0x7fc0, v65, vcc_lo
	v_add_co_u32 v70, vcc_lo, v45, s14
	v_add_co_ci_u32_e32 v71, vcc_lo, s15, v46, vcc_lo
	global_store_b16 v[70:71], v65, off
	s_or_b32 exec_lo, exec_lo, s7
	s_and_saveexec_b32 s7, s6
	s_cbranch_execz .LBB0_54
.LBB0_67:                               ;   in Loop: Header=BB0_13 Depth=1
	v_bfe_u32 v65, v69, 16, 1
	v_cmp_o_f32_e32 vcc_lo, v69, v69
	s_delay_alu instid0(VALU_DEP_2) | instskip(NEXT) | instid1(VALU_DEP_1)
	v_add3_u32 v65, v69, v65, 0x7fff
	v_lshrrev_b32_e32 v65, 16, v65
	s_delay_alu instid0(VALU_DEP_1)
	v_cndmask_b32_e32 v65, 0x7fc0, v65, vcc_lo
	v_add_co_u32 v68, vcc_lo, v33, s14
	v_add_co_ci_u32_e32 v69, vcc_lo, s15, v34, vcc_lo
	global_store_b16 v[68:69], v65, off
	s_or_b32 exec_lo, exec_lo, s7
	s_and_saveexec_b32 s7, s3
	s_cbranch_execz .LBB0_55
.LBB0_68:                               ;   in Loop: Header=BB0_13 Depth=1
	v_bfe_u32 v65, v10, 16, 1
	v_cmp_o_f32_e32 vcc_lo, v10, v10
	s_delay_alu instid0(VALU_DEP_2) | instskip(NEXT) | instid1(VALU_DEP_1)
	v_add3_u32 v65, v10, v65, 0x7fff
	v_lshrrev_b32_e32 v65, 16, v65
	s_delay_alu instid0(VALU_DEP_1)
	v_cndmask_b32_e32 v10, 0x7fc0, v65, vcc_lo
	v_add_co_u32 v68, vcc_lo, v25, s14
	v_add_co_ci_u32_e32 v69, vcc_lo, s15, v26, vcc_lo
	global_store_b16 v[68:69], v10, off
	s_or_b32 exec_lo, exec_lo, s7
	s_and_saveexec_b32 s7, s4
	s_cbranch_execz .LBB0_56
.LBB0_69:                               ;   in Loop: Header=BB0_13 Depth=1
	v_bfe_u32 v10, v13, 16, 1
	v_cmp_o_f32_e32 vcc_lo, v13, v13
	s_delay_alu instid0(VALU_DEP_2) | instskip(NEXT) | instid1(VALU_DEP_1)
	v_add3_u32 v10, v13, v10, 0x7fff
	v_lshrrev_b32_e32 v10, 16, v10
	s_delay_alu instid0(VALU_DEP_1)
	v_cndmask_b32_e32 v10, 0x7fc0, v10, vcc_lo
	v_add_co_u32 v68, vcc_lo, v57, s14
	v_add_co_ci_u32_e32 v69, vcc_lo, s15, v58, vcc_lo
	global_store_b16 v[68:69], v10, off
	s_or_b32 exec_lo, exec_lo, s7
	s_and_saveexec_b32 s7, s5
	s_cbranch_execz .LBB0_57
.LBB0_70:                               ;   in Loop: Header=BB0_13 Depth=1
	v_bfe_u32 v10, v67, 16, 1
	v_cmp_o_f32_e32 vcc_lo, v67, v67
	s_delay_alu instid0(VALU_DEP_2) | instskip(NEXT) | instid1(VALU_DEP_1)
	v_add3_u32 v10, v67, v10, 0x7fff
	v_lshrrev_b32_e32 v10, 16, v10
	s_delay_alu instid0(VALU_DEP_1)
	v_cndmask_b32_e32 v10, 0x7fc0, v10, vcc_lo
	v_add_co_u32 v67, vcc_lo, v47, s14
	v_add_co_ci_u32_e32 v68, vcc_lo, s15, v48, vcc_lo
	global_store_b16 v[67:68], v10, off
	s_or_b32 exec_lo, exec_lo, s7
	s_and_saveexec_b32 s7, s6
	s_cbranch_execz .LBB0_58
.LBB0_71:                               ;   in Loop: Header=BB0_13 Depth=1
	v_bfe_u32 v10, v66, 16, 1
	v_cmp_o_f32_e32 vcc_lo, v66, v66
	s_delay_alu instid0(VALU_DEP_2) | instskip(NEXT) | instid1(VALU_DEP_1)
	v_add3_u32 v10, v66, v10, 0x7fff
	v_lshrrev_b32_e32 v10, 16, v10
	s_delay_alu instid0(VALU_DEP_1)
	v_cndmask_b32_e32 v10, 0x7fc0, v10, vcc_lo
	v_add_co_u32 v65, vcc_lo, v35, s14
	v_add_co_ci_u32_e32 v66, vcc_lo, s15, v36, vcc_lo
	global_store_b16 v[65:66], v10, off
	s_or_b32 exec_lo, exec_lo, s7
	s_and_saveexec_b32 s7, s3
	s_cbranch_execz .LBB0_59
.LBB0_72:                               ;   in Loop: Header=BB0_13 Depth=1
	v_bfe_u32 v10, v8, 16, 1
	v_cmp_o_f32_e32 vcc_lo, v8, v8
	s_delay_alu instid0(VALU_DEP_2) | instskip(NEXT) | instid1(VALU_DEP_1)
	v_add3_u32 v10, v8, v10, 0x7fff
	v_lshrrev_b32_e32 v10, 16, v10
	s_delay_alu instid0(VALU_DEP_1)
	v_cndmask_b32_e32 v8, 0x7fc0, v10, vcc_lo
	v_add_co_u32 v65, vcc_lo, v27, s14
	v_add_co_ci_u32_e32 v66, vcc_lo, s15, v28, vcc_lo
	global_store_b16 v[65:66], v8, off
	s_or_b32 exec_lo, exec_lo, s7
	s_and_saveexec_b32 s7, s4
	s_cbranch_execz .LBB0_60
.LBB0_73:                               ;   in Loop: Header=BB0_13 Depth=1
	v_bfe_u32 v8, v9, 16, 1
	v_cmp_o_f32_e32 vcc_lo, v9, v9
	s_delay_alu instid0(VALU_DEP_2) | instskip(NEXT) | instid1(VALU_DEP_1)
	v_add3_u32 v8, v9, v8, 0x7fff
	v_lshrrev_b32_e32 v8, 16, v8
	s_delay_alu instid0(VALU_DEP_1)
	v_cndmask_b32_e32 v10, 0x7fc0, v8, vcc_lo
	v_add_co_u32 v8, vcc_lo, v59, s14
	v_add_co_ci_u32_e32 v9, vcc_lo, s15, v60, vcc_lo
	global_store_b16 v[8:9], v10, off
	s_or_b32 exec_lo, exec_lo, s7
	s_and_saveexec_b32 s7, s5
	s_cbranch_execz .LBB0_61
.LBB0_74:                               ;   in Loop: Header=BB0_13 Depth=1
	v_bfe_u32 v8, v12, 16, 1
	v_cmp_o_f32_e32 vcc_lo, v12, v12
	s_delay_alu instid0(VALU_DEP_2) | instskip(NEXT) | instid1(VALU_DEP_1)
	v_add3_u32 v8, v12, v8, 0x7fff
	v_lshrrev_b32_e32 v8, 16, v8
	s_delay_alu instid0(VALU_DEP_1)
	v_cndmask_b32_e32 v10, 0x7fc0, v8, vcc_lo
	v_add_co_u32 v8, vcc_lo, v49, s14
	v_add_co_ci_u32_e32 v9, vcc_lo, s15, v50, vcc_lo
	global_store_b16 v[8:9], v10, off
	s_or_b32 exec_lo, exec_lo, s7
	s_and_saveexec_b32 s7, s6
	s_cbranch_execz .LBB0_62
.LBB0_75:                               ;   in Loop: Header=BB0_13 Depth=1
	v_bfe_u32 v8, v11, 16, 1
	v_cmp_o_f32_e32 vcc_lo, v11, v11
	s_delay_alu instid0(VALU_DEP_2) | instskip(NEXT) | instid1(VALU_DEP_1)
	v_add3_u32 v8, v11, v8, 0x7fff
	v_lshrrev_b32_e32 v8, 16, v8
	s_delay_alu instid0(VALU_DEP_1) | instskip(SKIP_4) | instid1(SALU_CYCLE_1)
	v_cndmask_b32_e32 v10, 0x7fc0, v8, vcc_lo
	v_add_co_u32 v8, vcc_lo, v37, s14
	v_add_co_ci_u32_e32 v9, vcc_lo, s15, v38, vcc_lo
	global_store_b16 v[8:9], v10, off
	s_or_b32 exec_lo, exec_lo, s7
	s_and_b32 vcc_lo, exec_lo, s40
	s_cbranch_vccz .LBB0_12
.LBB0_76:                               ;   in Loop: Header=BB0_13 Depth=1
	s_and_saveexec_b32 s7, s3
	s_cbranch_execnz .LBB0_80
; %bb.77:                               ;   in Loop: Header=BB0_13 Depth=1
	s_or_b32 exec_lo, exec_lo, s7
	s_and_saveexec_b32 s3, s4
	s_cbranch_execnz .LBB0_81
.LBB0_78:                               ;   in Loop: Header=BB0_13 Depth=1
	s_or_b32 exec_lo, exec_lo, s3
	s_and_saveexec_b32 s3, s5
	s_cbranch_execnz .LBB0_82
.LBB0_79:                               ;   in Loop: Header=BB0_13 Depth=1
	s_or_b32 exec_lo, exec_lo, s3
	s_and_saveexec_b32 s3, s6
	s_cbranch_execz .LBB0_11
	s_branch .LBB0_83
.LBB0_80:                               ;   in Loop: Header=BB0_13 Depth=1
	v_add_co_u32 v8, vcc_lo, v21, s10
	v_add_co_ci_u32_e32 v9, vcc_lo, s11, v22, vcc_lo
	global_store_b32 v[8:9], v61, off
	s_or_b32 exec_lo, exec_lo, s7
	s_and_saveexec_b32 s3, s4
	s_cbranch_execz .LBB0_78
.LBB0_81:                               ;   in Loop: Header=BB0_13 Depth=1
	v_add_co_u32 v8, vcc_lo, v53, s10
	v_add_co_ci_u32_e32 v9, vcc_lo, s11, v54, vcc_lo
	global_store_b32 v[8:9], v62, off
	s_or_b32 exec_lo, exec_lo, s3
	s_and_saveexec_b32 s3, s5
	s_cbranch_execz .LBB0_79
.LBB0_82:                               ;   in Loop: Header=BB0_13 Depth=1
	v_add_co_u32 v8, vcc_lo, v43, s10
	v_add_co_ci_u32_e32 v9, vcc_lo, s11, v44, vcc_lo
	global_store_b32 v[8:9], v63, off
	s_or_b32 exec_lo, exec_lo, s3
	s_and_saveexec_b32 s3, s6
	s_cbranch_execz .LBB0_11
.LBB0_83:                               ;   in Loop: Header=BB0_13 Depth=1
	v_add_co_u32 v8, vcc_lo, v31, s10
	v_add_co_ci_u32_e32 v9, vcc_lo, s11, v32, vcc_lo
	global_store_b32 v[8:9], v64, off
	s_branch .LBB0_11
.LBB0_84:
                                        ; implicit-def: $sgpr6
	v_mov_b32_e32 v14, s6
	s_branch .LBB0_2
.LBB0_85:
	s_mov_b32 s2, 0
.LBB0_86:
	s_delay_alu instid0(SALU_CYCLE_1)
	s_and_not1_b32 vcc_lo, exec_lo, s2
	s_cbranch_vccnz .LBB0_100
; %bb.87:
	v_dual_mov_b32 v8, 0 :: v_dual_lshlrev_b32 v7, 2, v0
	s_mov_b32 s4, 0
	s_mov_b32 s2, exec_lo
	s_delay_alu instid0(VALU_DEP_1)
	v_cmpx_gt_i64_e64 s[8:9], v[7:8]
	s_cbranch_execz .LBB0_100
; %bb.88:
	v_cvt_f32_f64_e32 v1, v[4:5]
	s_load_b128 s[16:19], s[0:1], 0xd00
	v_cvt_f32_f64_e32 v27, v[2:3]
	v_cvt_f32_f64_e32 v28, s[56:57]
	;; [unrolled: 1-line block ×3, first 2 shown]
	s_load_b32 s0, s[0:1], 0xd34
	s_cmp_lg_u64 s[12:13], 0
	v_lshlrev_b32_e32 v32, 4, v0
	s_cselect_b32 s5, -1, 0
	v_lshlrev_b32_e32 v31, 3, v0
	s_waitcnt lgkmcnt(0)
	v_cvt_f32_f64_e32 v6, s[16:17]
	v_cvt_f32_f64_e32 v30, s[18:19]
	s_and_b32 s1, s0, 0xffff
	s_delay_alu instid0(SALU_CYCLE_1) | instskip(SKIP_4) | instid1(VALU_DEP_2)
	s_lshl_b32 s6, s1, 3
	s_lshl_b32 s7, s1, 2
	;; [unrolled: 1-line block ×3, first 2 shown]
	v_div_scale_f32 v4, null, v1, v1, v14
	v_div_scale_f32 v3, vcc_lo, v14, v1, v14
	v_rcp_f32_e32 v5, v4
	s_waitcnt_depctr 0xfff
	v_fma_f32 v2, -v4, v5, 1.0
	s_delay_alu instid0(VALU_DEP_1) | instskip(SKIP_1) | instid1(VALU_DEP_2)
	v_fmac_f32_e32 v5, v2, v5
	v_cmp_neq_f32_e64 s0, 0, v6
	v_dual_mul_f32 v33, v14, v6 :: v_dual_mul_f32 v2, v3, v5
	s_delay_alu instid0(VALU_DEP_1) | instskip(NEXT) | instid1(VALU_DEP_1)
	v_fma_f32 v7, -v4, v2, v3
	v_fmac_f32_e32 v2, v7, v5
	v_add_lshl_u32 v7, v0, s1, 2
	v_mov_b32_e32 v10, v8
	s_delay_alu instid0(VALU_DEP_3) | instskip(NEXT) | instid1(VALU_DEP_3)
	v_fma_f32 v3, -v4, v2, v3
	v_mov_b32_e32 v9, v7
	s_delay_alu instid0(VALU_DEP_2) | instskip(NEXT) | instid1(VALU_DEP_1)
	v_div_fmas_f32 v2, v3, v5, v2
	v_div_fixup_f32 v34, v2, v1, v14
	s_branch .LBB0_90
.LBB0_89:                               ;   in Loop: Header=BB0_90 Depth=1
	v_cmp_le_i64_e32 vcc_lo, s[8:9], v[9:10]
	v_cmp_lt_u64_e64 s1, 0xffff, v[9:10]
	s_delay_alu instid0(VALU_DEP_1)
	s_or_b32 s1, vcc_lo, s1
	s_add_u32 vcc_hi, vcc_hi, s6
	s_addc_u32 s28, s28, 0
	s_add_u32 s29, s29, s6
	s_addc_u32 s30, s30, 0
	s_add_u32 s25, s25, s6
	;; [unrolled: 2-line block ×3, first 2 shown]
	v_add_co_u32 v9, vcc_lo, v9, s7
	s_addc_u32 s27, s27, 0
	s_add_u32 s33, s33, s10
	v_add_co_ci_u32_e32 v10, vcc_lo, 0, v10, vcc_lo
	s_addc_u32 s104, s104, 0
	s_and_b32 s1, exec_lo, s1
	s_delay_alu instid0(SALU_CYCLE_1) | instskip(NEXT) | instid1(SALU_CYCLE_1)
	s_or_b32 s4, s1, s4
	s_and_not1_b32 exec_lo, exec_lo, s4
	s_cbranch_execz .LBB0_100
.LBB0_90:                               ; =>This Inner Loop Header: Depth=1
	v_add_co_u32 v13, s1, s26, v32
	s_delay_alu instid0(VALU_DEP_1) | instskip(SKIP_1) | instid1(VALU_DEP_1)
	v_add_co_ci_u32_e64 v14, null, s27, 0, s1
	v_add_co_u32 v11, s1, s33, v32
	v_add_co_ci_u32_e64 v12, null, s104, 0, s1
	v_add_co_u32 v15, s1, vcc_hi, v31
	s_delay_alu instid0(VALU_DEP_1) | instskip(SKIP_1) | instid1(VALU_DEP_1)
	v_add_co_ci_u32_e64 v16, null, s28, 0, s1
	v_add_co_u32 v17, s1, s29, v31
	v_add_co_ci_u32_e64 v18, null, s30, 0, s1
	v_add_co_u32 v19, s1, s25, v31
	s_delay_alu instid0(VALU_DEP_1)
	v_add_co_ci_u32_e64 v20, null, s31, 0, s1
	global_load_b128 v[4:7], v[13:14], off
	global_load_b128 v[0:3], v[11:12], off
	global_load_b64 v[21:22], v[15:16], off
	global_load_b64 v[25:26], v[17:18], off
	;; [unrolled: 1-line block ×3, first 2 shown]
	s_and_not1_b32 vcc_lo, exec_lo, s5
	s_cbranch_vccnz .LBB0_92
; %bb.91:                               ;   in Loop: Header=BB0_90 Depth=1
	global_load_b32 v35, v8, s[12:13]
	s_waitcnt vmcnt(0)
	v_div_scale_f32 v36, null, v35, v35, v0
	s_delay_alu instid0(VALU_DEP_1) | instskip(SKIP_2) | instid1(VALU_DEP_1)
	v_rcp_f32_e32 v37, v36
	s_waitcnt_depctr 0xfff
	v_fma_f32 v38, -v36, v37, 1.0
	v_fmac_f32_e32 v37, v38, v37
	v_div_scale_f32 v38, vcc_lo, v0, v35, v0
	s_delay_alu instid0(VALU_DEP_1) | instskip(NEXT) | instid1(VALU_DEP_1)
	v_mul_f32_e32 v39, v38, v37
	v_fma_f32 v40, -v36, v39, v38
	s_delay_alu instid0(VALU_DEP_1) | instskip(NEXT) | instid1(VALU_DEP_1)
	v_fmac_f32_e32 v39, v40, v37
	v_fma_f32 v36, -v36, v39, v38
	s_delay_alu instid0(VALU_DEP_1) | instskip(NEXT) | instid1(VALU_DEP_1)
	v_div_fmas_f32 v36, v36, v37, v39
	v_div_fixup_f32 v0, v36, v35, v0
.LBB0_92:                               ;   in Loop: Header=BB0_90 Depth=1
	s_and_not1_b32 vcc_lo, exec_lo, s5
	s_cbranch_vccnz .LBB0_94
; %bb.93:                               ;   in Loop: Header=BB0_90 Depth=1
	global_load_b32 v35, v8, s[12:13]
	s_waitcnt vmcnt(0)
	v_div_scale_f32 v36, null, v35, v35, v1
	s_delay_alu instid0(VALU_DEP_1) | instskip(SKIP_2) | instid1(VALU_DEP_1)
	v_rcp_f32_e32 v37, v36
	s_waitcnt_depctr 0xfff
	v_fma_f32 v38, -v36, v37, 1.0
	v_fmac_f32_e32 v37, v38, v37
	v_div_scale_f32 v38, vcc_lo, v1, v35, v1
	s_delay_alu instid0(VALU_DEP_1) | instskip(NEXT) | instid1(VALU_DEP_1)
	v_mul_f32_e32 v39, v38, v37
	v_fma_f32 v40, -v36, v39, v38
	s_delay_alu instid0(VALU_DEP_1) | instskip(NEXT) | instid1(VALU_DEP_1)
	v_fmac_f32_e32 v39, v40, v37
	v_fma_f32 v36, -v36, v39, v38
	s_delay_alu instid0(VALU_DEP_1) | instskip(NEXT) | instid1(VALU_DEP_1)
	v_div_fmas_f32 v36, v36, v37, v39
	v_div_fixup_f32 v1, v36, v35, v1
.LBB0_94:                               ;   in Loop: Header=BB0_90 Depth=1
	;; [unrolled: 22-line block ×4, first 2 shown]
	s_waitcnt vmcnt(3)
	s_delay_alu instid0(VALU_DEP_1)
	v_cndmask_b32_e64 v37, v2, -v2, s24
	s_waitcnt vmcnt(1)
	v_and_b32_e32 v44, 0xffff0000, v25
	v_cndmask_b32_e64 v53, v0, -v0, s24
	v_cndmask_b32_e64 v56, v3, -v3, s24
	v_dual_mul_f32 v35, v37, v37 :: v_dual_lshlrev_b32 v38, 16, v26
	v_fma_f32 v37, -v28, v37, v37
	v_lshlrev_b32_e32 v49, 16, v22
	v_and_b32_e32 v26, 0xffff0000, v26
	v_and_b32_e32 v22, 0xffff0000, v22
	v_fma_f32 v36, -v29, v35, v35
	s_waitcnt vmcnt(0)
	v_lshlrev_b32_e32 v39, 16, v24
	v_dual_fmac_f32 v37, v28, v49 :: v_dual_and_b32 v24, 0xffff0000, v24
	s_delay_alu instid0(VALU_DEP_3) | instskip(NEXT) | instid1(VALU_DEP_3)
	v_dual_fmac_f32 v36, v29, v38 :: v_dual_and_b32 v49, 0xffff0000, v21
	v_max_f32_e32 v35, v39, v39
	s_delay_alu instid0(VALU_DEP_3) | instskip(NEXT) | instid1(VALU_DEP_3)
	v_dual_max_f32 v24, v24, v24 :: v_dual_lshlrev_b32 v21, 16, v21
	v_bfe_u32 v67, v36, 16, 1
	s_delay_alu instid0(VALU_DEP_3) | instskip(NEXT) | instid1(VALU_DEP_1)
	v_max_f32_e32 v35, v35, v36
	v_cmp_gt_f32_e32 vcc_lo, 0xf800000, v35
	v_mul_f32_e32 v38, 0x4f800000, v35
	s_delay_alu instid0(VALU_DEP_1) | instskip(NEXT) | instid1(VALU_DEP_1)
	v_cndmask_b32_e32 v38, v35, v38, vcc_lo
	v_sqrt_f32_e32 v39, v38
	s_waitcnt_depctr 0xfff
	v_add_nc_u32_e32 v41, 1, v39
	v_add_nc_u32_e32 v40, -1, v39
	s_delay_alu instid0(VALU_DEP_2) | instskip(NEXT) | instid1(VALU_DEP_2)
	v_fma_f32 v43, -v41, v39, v38
	v_fma_f32 v42, -v40, v39, v38
	s_delay_alu instid0(VALU_DEP_1) | instskip(NEXT) | instid1(VALU_DEP_1)
	v_cmp_ge_f32_e64 s1, 0, v42
	v_cndmask_b32_e64 v39, v39, v40, s1
	s_delay_alu instid0(VALU_DEP_4) | instskip(SKIP_1) | instid1(VALU_DEP_2)
	v_cmp_lt_f32_e64 s1, 0, v43
	v_cndmask_b32_e64 v40, v1, -v1, s24
	v_cndmask_b32_e64 v39, v39, v41, s1
	s_delay_alu instid0(VALU_DEP_2) | instskip(SKIP_1) | instid1(VALU_DEP_1)
	v_mul_f32_e32 v42, v40, v40
	v_fma_f32 v40, -v28, v40, v40
	v_dual_mul_f32 v41, 0x37800000, v39 :: v_dual_fmac_f32 v40, v28, v49
	s_delay_alu instid0(VALU_DEP_1) | instskip(NEXT) | instid1(VALU_DEP_4)
	v_cndmask_b32_e32 v39, v39, v41, vcc_lo
	v_fma_f32 v41, -v29, v42, v42
	v_cmp_class_f32_e64 vcc_lo, v38, 0x260
	s_delay_alu instid0(VALU_DEP_2) | instskip(NEXT) | instid1(VALU_DEP_4)
	v_fmac_f32_e32 v41, v29, v44
	v_dual_cndmask_b32 v38, v39, v38 :: v_dual_and_b32 v43, 0xffff0000, v23
	v_lshlrev_b32_e32 v23, 16, v23
	s_delay_alu instid0(VALU_DEP_2) | instskip(NEXT) | instid1(VALU_DEP_3)
	v_max_f32_e32 v42, v43, v43
	v_div_scale_f32 v39, null, v27, v27, v38
	v_div_scale_f32 v47, vcc_lo, v38, v27, v38
	s_delay_alu instid0(VALU_DEP_3) | instskip(NEXT) | instid1(VALU_DEP_3)
	v_max_f32_e32 v42, v42, v41
	v_rcp_f32_e32 v43, v39
	s_delay_alu instid0(VALU_DEP_1) | instskip(SKIP_1) | instid1(VALU_DEP_1)
	v_dual_max_f32 v23, v23, v23 :: v_dual_mul_f32 v44, 0x4f800000, v42
	v_cmp_gt_f32_e64 s1, 0xf800000, v42
	v_cndmask_b32_e64 v44, v42, v44, s1
	s_waitcnt_depctr 0xfff
	v_fma_f32 v45, -v39, v43, 1.0
	v_sqrt_f32_e32 v46, v44
	s_delay_alu instid0(VALU_DEP_1) | instskip(SKIP_2) | instid1(VALU_DEP_1)
	v_fmac_f32_e32 v43, v45, v43
	s_waitcnt_depctr 0xfff
	v_dual_mul_f32 v45, v47, v43 :: v_dual_add_nc_u32 v48, -1, v46
	v_fma_f32 v51, -v39, v45, v47
	v_add_nc_u32_e32 v50, 1, v46
	s_delay_alu instid0(VALU_DEP_3) | instskip(NEXT) | instid1(VALU_DEP_3)
	v_fma_f32 v52, -v48, v46, v44
	v_fmac_f32_e32 v45, v51, v43
	s_delay_alu instid0(VALU_DEP_3) | instskip(NEXT) | instid1(VALU_DEP_3)
	v_fma_f32 v54, -v50, v46, v44
	v_cmp_ge_f32_e64 s2, 0, v52
	s_delay_alu instid0(VALU_DEP_3) | instskip(NEXT) | instid1(VALU_DEP_2)
	v_fma_f32 v39, -v39, v45, v47
	v_cndmask_b32_e64 v46, v46, v48, s2
	s_delay_alu instid0(VALU_DEP_4) | instskip(SKIP_1) | instid1(VALU_DEP_4)
	v_cmp_lt_f32_e64 s2, 0, v54
	v_mul_f32_e32 v48, v53, v53
	v_div_fmas_f32 v39, v39, v43, v45
	v_cmp_class_f32_e64 vcc_lo, v44, 0x260
	v_fma_f32 v53, -v28, v53, v53
	v_cndmask_b32_e64 v46, v46, v50, s2
	v_fma_f32 v45, -v29, v48, v48
	v_div_fixup_f32 v38, v39, v27, v38
	v_lshlrev_b32_e32 v25, 16, v25
	v_fmac_f32_e32 v53, v28, v21
	v_mul_f32_e32 v43, 0x37800000, v46
	s_delay_alu instid0(VALU_DEP_3) | instskip(SKIP_1) | instid1(VALU_DEP_3)
	v_dual_add_f32 v38, v38, v30 :: v_dual_fmac_f32 v45, v29, v25
	v_mul_f32_e32 v25, v34, v37
	v_cndmask_b32_e64 v39, v46, v43, s1
	s_delay_alu instid0(VALU_DEP_2) | instskip(NEXT) | instid1(VALU_DEP_2)
	v_div_scale_f32 v43, null, v38, v38, v25
	v_cndmask_b32_e32 v39, v39, v44, vcc_lo
	v_div_scale_f32 v54, vcc_lo, v25, v38, v25
	s_delay_alu instid0(VALU_DEP_3) | instskip(NEXT) | instid1(VALU_DEP_2)
	v_rcp_f32_e32 v46, v43
	v_div_scale_f32 v44, null, v27, v27, v39
	s_delay_alu instid0(VALU_DEP_1) | instskip(SKIP_2) | instid1(VALU_DEP_1)
	v_rcp_f32_e32 v48, v44
	s_waitcnt_depctr 0xfff
	v_fma_f32 v50, -v43, v46, 1.0
	v_fmac_f32_e32 v46, v50, v46
	v_fma_f32 v52, -v44, v48, 1.0
	s_delay_alu instid0(VALU_DEP_1) | instskip(NEXT) | instid1(VALU_DEP_3)
	v_fmac_f32_e32 v48, v52, v48
	v_dual_mul_f32 v52, v54, v46 :: v_dual_max_f32 v23, v23, v45
	s_delay_alu instid0(VALU_DEP_1) | instskip(NEXT) | instid1(VALU_DEP_2)
	v_fma_f32 v59, -v43, v52, v54
	v_mul_f32_e32 v47, 0x4f800000, v23
	v_cmp_gt_f32_e64 s1, 0xf800000, v23
	s_delay_alu instid0(VALU_DEP_3) | instskip(SKIP_1) | instid1(VALU_DEP_3)
	v_fmac_f32_e32 v52, v59, v46
	v_fma_f32 v59, -v33, v6, v6
	v_cndmask_b32_e64 v47, v23, v47, s1
	s_delay_alu instid0(VALU_DEP_3) | instskip(NEXT) | instid1(VALU_DEP_3)
	v_fma_f32 v43, -v43, v52, v54
	v_cndmask_b32_e64 v6, v6, v59, s0
	s_delay_alu instid0(VALU_DEP_3) | instskip(NEXT) | instid1(VALU_DEP_2)
	v_sqrt_f32_e32 v51, v47
	v_div_fmas_f32 v43, v43, v46, v52
	s_waitcnt_depctr 0xfff
	v_add_nc_u32_e32 v55, -1, v51
	v_add_nc_u32_e32 v58, 1, v51
	v_div_fixup_f32 v25, v43, v38, v25
	s_delay_alu instid0(VALU_DEP_3) | instskip(NEXT) | instid1(VALU_DEP_3)
	v_fma_f32 v60, -v55, v51, v47
	v_fma_f32 v62, -v58, v51, v47
	s_delay_alu instid0(VALU_DEP_3) | instskip(NEXT) | instid1(VALU_DEP_3)
	v_sub_f32_e32 v6, v6, v25
	v_cmp_ge_f32_e64 s3, 0, v60
	s_delay_alu instid0(VALU_DEP_1) | instskip(NEXT) | instid1(VALU_DEP_4)
	v_cndmask_b32_e64 v51, v51, v55, s3
	v_cmp_lt_f32_e64 s3, 0, v62
	v_mul_f32_e32 v55, v56, v56
	s_delay_alu instid0(VALU_DEP_2) | instskip(NEXT) | instid1(VALU_DEP_1)
	v_cndmask_b32_e64 v51, v51, v58, s3
	v_mul_f32_e32 v46, 0x37800000, v51
	v_div_scale_f32 v50, s2, v39, v27, v39
	s_delay_alu instid0(VALU_DEP_1) | instskip(NEXT) | instid1(VALU_DEP_1)
	s_mov_b32 vcc_lo, s2
	v_mul_f32_e32 v57, v50, v48
	s_delay_alu instid0(VALU_DEP_1) | instskip(NEXT) | instid1(VALU_DEP_1)
	v_fma_f32 v61, -v44, v57, v50
	v_fmac_f32_e32 v57, v61, v48
	s_delay_alu instid0(VALU_DEP_1) | instskip(NEXT) | instid1(VALU_DEP_1)
	v_fma_f32 v44, -v44, v57, v50
	v_div_fmas_f32 v44, v44, v48, v57
	v_cmp_class_f32_e64 vcc_lo, v47, 0x260
	v_fma_f32 v48, -v29, v55, v55
	s_delay_alu instid0(VALU_DEP_3) | instskip(SKIP_1) | instid1(VALU_DEP_3)
	v_div_fixup_f32 v39, v44, v27, v39
	v_cndmask_b32_e64 v44, v51, v46, s1
	v_fmac_f32_e32 v48, v29, v26
	s_delay_alu instid0(VALU_DEP_3) | instskip(NEXT) | instid1(VALU_DEP_3)
	v_dual_mul_f32 v26, v34, v40 :: v_dual_add_f32 v39, v39, v30
	v_cndmask_b32_e32 v44, v44, v47, vcc_lo
	s_delay_alu instid0(VALU_DEP_3) | instskip(NEXT) | instid1(VALU_DEP_3)
	v_bfe_u32 v68, v48, 16, 1
	v_div_scale_f32 v57, vcc_lo, v26, v39, v26
	s_delay_alu instid0(VALU_DEP_3) | instskip(NEXT) | instid1(VALU_DEP_1)
	v_div_scale_f32 v47, null, v27, v27, v44
	v_rcp_f32_e32 v51, v47
	s_waitcnt_depctr 0xfff
	v_fma_f32 v55, -v47, v51, 1.0
	v_max_f32_e32 v46, v24, v48
	v_div_scale_f32 v24, null, v39, v39, v26
	s_delay_alu instid0(VALU_DEP_2) | instskip(NEXT) | instid1(VALU_DEP_2)
	v_dual_fmac_f32 v51, v55, v51 :: v_dual_mul_f32 v50, 0x4f800000, v46
	v_rcp_f32_e32 v49, v24
	v_cmp_gt_f32_e64 s1, 0xf800000, v46
	s_delay_alu instid0(VALU_DEP_1) | instskip(SKIP_3) | instid1(VALU_DEP_1)
	v_cndmask_b32_e64 v50, v46, v50, s1
	s_waitcnt_depctr 0xfff
	v_fma_f32 v52, -v24, v49, 1.0
	v_sqrt_f32_e32 v54, v50
	v_fmac_f32_e32 v49, v52, v49
	v_div_scale_f32 v52, s2, v44, v27, v44
	s_waitcnt_depctr 0xfff
	v_dual_mul_f32 v55, v57, v49 :: v_dual_add_nc_u32 v58, -1, v54
	v_mul_f32_e32 v60, v52, v51
	s_delay_alu instid0(VALU_DEP_2) | instskip(NEXT) | instid1(VALU_DEP_3)
	v_fma_f32 v63, -v58, v54, v50
	v_fma_f32 v62, -v24, v55, v57
	s_delay_alu instid0(VALU_DEP_3) | instskip(SKIP_1) | instid1(VALU_DEP_4)
	v_fma_f32 v64, -v47, v60, v52
	v_add_nc_u32_e32 v61, 1, v54
	v_cmp_ge_f32_e64 s3, 0, v63
	s_delay_alu instid0(VALU_DEP_3) | instskip(NEXT) | instid1(VALU_DEP_3)
	v_dual_fmac_f32 v55, v62, v49 :: v_dual_fmac_f32 v60, v64, v51
	v_fma_f32 v65, -v61, v54, v50
	v_bfe_u32 v63, v45, 16, 1
	s_delay_alu instid0(VALU_DEP_4) | instskip(NEXT) | instid1(VALU_DEP_4)
	v_cndmask_b32_e64 v54, v54, v58, s3
	v_fma_f32 v24, -v24, v55, v57
	v_fma_f32 v47, -v47, v60, v52
	v_cmp_lt_f32_e64 s3, 0, v65
	v_bfe_u32 v65, v41, 16, 1
	v_fma_f32 v52, -v33, v4, v4
	v_div_fmas_f32 v49, v24, v49, v55
	s_mov_b32 vcc_lo, s2
	v_cndmask_b32_e64 v54, v54, v61, s3
	v_div_fmas_f32 v24, v47, v51, v60
	v_cmp_class_f32_e64 vcc_lo, v50, 0x260
	v_fma_f32 v47, -v33, v5, v5
	v_bfe_u32 v57, v37, 16, 1
	v_mul_f32_e32 v51, 0x37800000, v54
	v_div_fixup_f32 v21, v24, v27, v44
	v_fma_f32 v44, -v33, v7, v7
	v_cndmask_b32_e64 v5, v5, v47, s0
	v_cndmask_b32_e64 v4, v4, v52, s0
	;; [unrolled: 1-line block ×3, first 2 shown]
	v_add_f32_e32 v54, v21, v30
	v_bfe_u32 v47, v53, 16, 1
	v_bfe_u32 v52, v40, 16, 1
	v_add3_u32 v57, v37, v57, 0x7fff
	v_cndmask_b32_e32 v21, v24, v50, vcc_lo
	v_fma_f32 v24, -v28, v56, v56
	v_add3_u32 v47, v53, v47, 0x7fff
	v_cndmask_b32_e64 v7, v7, v44, s0
	v_add3_u32 v52, v40, v52, 0x7fff
	v_div_scale_f32 v55, null, v27, v27, v21
	v_fmac_f32_e32 v24, v28, v22
	v_lshrrev_b32_e32 v47, 16, v47
	v_lshrrev_b32_e32 v57, 16, v57
	s_delay_alu instid0(VALU_DEP_4) | instskip(SKIP_4) | instid1(VALU_DEP_3)
	v_rcp_f32_e32 v22, v55
	v_and_b32_e32 v52, 0xffff0000, v52
	v_bfe_u32 v59, v24, 16, 1
	v_mul_f32_e32 v44, v34, v24
	v_div_fixup_f32 v26, v49, v39, v26
	v_add3_u32 v59, v24, v59, 0x7fff
	s_delay_alu instid0(VALU_DEP_2) | instskip(NEXT) | instid1(TRANS32_DEP_1)
	v_sub_f32_e32 v5, v5, v26
	v_fma_f32 v60, -v55, v22, 1.0
	v_mul_f32_e32 v51, v34, v53
	s_delay_alu instid0(VALU_DEP_2) | instskip(NEXT) | instid1(VALU_DEP_2)
	v_dual_fmac_f32 v22, v60, v22 :: v_dual_and_b32 v59, 0xffff0000, v59
	v_div_scale_f32 v50, null, v54, v54, v51
	v_div_scale_f32 v61, vcc_lo, v51, v54, v51
	s_delay_alu instid0(VALU_DEP_2) | instskip(SKIP_2) | instid1(VALU_DEP_1)
	v_rcp_f32_e32 v56, v50
	s_waitcnt_depctr 0xfff
	v_fma_f32 v58, -v50, v56, 1.0
	v_fmac_f32_e32 v56, v58, v56
	v_div_scale_f32 v58, s1, v21, v27, v21
	s_delay_alu instid0(VALU_DEP_2) | instskip(NEXT) | instid1(VALU_DEP_2)
	v_mul_f32_e32 v60, v61, v56
	v_mul_f32_e32 v62, v58, v22
	s_delay_alu instid0(VALU_DEP_2) | instskip(NEXT) | instid1(VALU_DEP_2)
	v_fma_f32 v64, -v50, v60, v61
	v_fma_f32 v66, -v55, v62, v58
	s_delay_alu instid0(VALU_DEP_2) | instskip(NEXT) | instid1(VALU_DEP_1)
	v_fmac_f32_e32 v60, v64, v56
	v_fma_f32 v50, -v50, v60, v61
	v_bfe_u32 v61, v42, 16, 1
	s_delay_alu instid0(VALU_DEP_2)
	v_div_fmas_f32 v50, v50, v56, v60
	v_add3_u32 v56, v41, v65, 0x7fff
	v_fmac_f32_e32 v62, v66, v22
	s_mov_b32 vcc_lo, s1
	v_add3_u32 v60, v48, v68, 0x7fff
	v_cmp_o_f32_e64 s1, v36, v36
	v_div_fixup_f32 v38, v50, v54, v51
	v_fma_f32 v55, -v55, v62, v58
	v_add3_u32 v58, v36, v67, 0x7fff
	s_delay_alu instid0(VALU_DEP_3) | instskip(NEXT) | instid1(VALU_DEP_3)
	v_sub_f32_e32 v4, v4, v38
	v_div_fmas_f32 v22, v55, v22, v62
	v_cmp_o_f32_e32 vcc_lo, v24, v24
	v_add3_u32 v55, v45, v63, 0x7fff
	v_bfe_u32 v63, v46, 16, 1
	v_bfe_u32 v62, v35, 16, 1
	v_div_fixup_f32 v21, v22, v27, v21
	v_bfe_u32 v22, v23, 16, 1
	s_delay_alu instid0(VALU_DEP_2)
	v_dual_add_f32 v64, v21, v30 :: v_dual_cndmask_b32 v21, 0x7fc00000, v59
	v_cmp_o_f32_e32 vcc_lo, v37, v37
	v_add3_u32 v59, v42, v61, 0x7fff
	v_add3_u32 v61, v46, v63, 0x7fff
	v_cndmask_b32_e32 v24, 0x7fc0, v57, vcc_lo
	v_cmp_o_f32_e32 vcc_lo, v40, v40
	v_and_b32_e32 v57, 0xffff0000, v60
	v_div_scale_f32 v37, null, v64, v64, v44
	v_add3_u32 v60, v35, v62, 0x7fff
	v_cndmask_b32_e32 v40, 0x7fc00000, v52, vcc_lo
	v_cmp_o_f32_e32 vcc_lo, v53, v53
	s_delay_alu instid0(VALU_DEP_4)
	v_rcp_f32_e32 v53, v37
	v_lshrrev_b32_e32 v52, 16, v55
	v_and_b32_e32 v55, 0xffff0000, v56
	v_lshrrev_b32_e32 v56, 16, v58
	v_cndmask_b32_e32 v47, 0x7fc0, v47, vcc_lo
	v_add3_u32 v58, v23, v22, 0x7fff
	v_or3_b32 v22, 0, v24, v21
	v_cmp_o_f32_e32 vcc_lo, v48, v48
	v_cndmask_b32_e64 v36, 0x7fc0, v56, s1
	v_or_b32_e32 v40, v40, v47
	v_fma_f32 v21, -v37, v53, 1.0
	v_cmp_o_f32_e64 s1, v41, v41
	v_cndmask_b32_e32 v24, 0x7fc00000, v57, vcc_lo
	v_div_scale_f32 v47, vcc_lo, v44, v64, v44
	s_delay_alu instid0(VALU_DEP_4) | instskip(NEXT) | instid1(VALU_DEP_4)
	v_fmac_f32_e32 v53, v21, v53
	v_cndmask_b32_e64 v41, 0x7fc00000, v55, s1
	v_cmp_o_f32_e64 s1, v45, v45
	v_and_b32_e32 v55, 0xffff0000, v59
	v_lshrrev_b32_e32 v56, 16, v60
	v_mul_f32_e32 v48, v47, v53
	v_or3_b32 v24, 0, v36, v24
	v_cndmask_b32_e64 v45, 0x7fc0, v52, s1
	v_lshrrev_b32_e32 v52, 16, v58
	v_and_b32_e32 v58, 0xffff0000, v61
	v_fma_f32 v57, -v37, v48, v47
	v_cmp_o_f32_e64 s1, v46, v46
	v_or3_b32 v21, v40, 0, 0
	v_or_b32_e32 v40, v41, v45
	s_delay_alu instid0(VALU_DEP_4) | instskip(NEXT) | instid1(VALU_DEP_4)
	v_fmac_f32_e32 v48, v57, v53
	v_cndmask_b32_e64 v36, 0x7fc00000, v58, s1
	v_cmp_o_f32_e64 s1, v35, v35
	s_delay_alu instid0(VALU_DEP_3) | instskip(NEXT) | instid1(VALU_DEP_2)
	v_fma_f32 v37, -v37, v48, v47
	v_cndmask_b32_e64 v35, 0x7fc0, v56, s1
	v_cmp_o_f32_e64 s1, v42, v42
	s_delay_alu instid0(VALU_DEP_3) | instskip(SKIP_1) | instid1(VALU_DEP_4)
	v_div_fmas_f32 v37, v37, v53, v48
	v_cmp_o_f32_e32 vcc_lo, v23, v23
	v_or3_b32 v26, 0, v35, v36
	s_delay_alu instid0(VALU_DEP_4) | instskip(NEXT) | instid1(VALU_DEP_4)
	v_cndmask_b32_e64 v41, 0x7fc00000, v55, s1
	v_div_fixup_f32 v37, v37, v64, v44
	v_cndmask_b32_e32 v23, 0x7fc0, v52, vcc_lo
	s_and_not1_b32 vcc_lo, exec_lo, s5
	s_delay_alu instid0(VALU_DEP_2) | instskip(NEXT) | instid1(VALU_DEP_2)
	v_sub_f32_e32 v7, v7, v37
	v_or_b32_e32 v39, v41, v23
	v_or3_b32 v23, v40, 0, 0
	s_delay_alu instid0(VALU_DEP_2)
	v_or3_b32 v25, v39, 0, 0
	global_store_b128 v[13:14], v[4:7], off
	global_store_b64 v[15:16], v[21:22], off
	global_store_b64 v[17:18], v[23:24], off
	;; [unrolled: 1-line block ×3, first 2 shown]
	s_cbranch_vccnz .LBB0_89
; %bb.99:                               ;   in Loop: Header=BB0_90 Depth=1
	global_store_b128 v[11:12], v[0:3], off
	s_branch .LBB0_89
.LBB0_100:
	s_nop 0
	s_sendmsg sendmsg(MSG_DEALLOC_VGPRS)
	s_endpgm
	.section	.rodata,"a",@progbits
	.p2align	6, 0x0
	.amdhsa_kernel _ZN2at6native12_GLOBAL__N_125multi_tensor_apply_kernelINS1_32FusedOptimizerTensorListMetadataILi5EEENS1_22FusedAdamMathFunctorMPIfffN3c108BFloat16ES7_S7_Li5ELNS0_9ADAM_MODEE1ELb1EEEJPKfdddddbSB_SB_EEEvT_T0_DpT1_
		.amdhsa_group_segment_fixed_size 0
		.amdhsa_private_segment_fixed_size 0
		.amdhsa_kernarg_size 3624
		.amdhsa_user_sgpr_count 15
		.amdhsa_user_sgpr_dispatch_ptr 0
		.amdhsa_user_sgpr_queue_ptr 0
		.amdhsa_user_sgpr_kernarg_segment_ptr 1
		.amdhsa_user_sgpr_dispatch_id 0
		.amdhsa_user_sgpr_private_segment_size 0
		.amdhsa_wavefront_size32 1
		.amdhsa_uses_dynamic_stack 0
		.amdhsa_enable_private_segment 0
		.amdhsa_system_sgpr_workgroup_id_x 1
		.amdhsa_system_sgpr_workgroup_id_y 0
		.amdhsa_system_sgpr_workgroup_id_z 0
		.amdhsa_system_sgpr_workgroup_info 0
		.amdhsa_system_vgpr_workitem_id 0
		.amdhsa_next_free_vgpr 83
		.amdhsa_next_free_sgpr 105
		.amdhsa_reserve_vcc 1
		.amdhsa_float_round_mode_32 0
		.amdhsa_float_round_mode_16_64 0
		.amdhsa_float_denorm_mode_32 3
		.amdhsa_float_denorm_mode_16_64 3
		.amdhsa_dx10_clamp 1
		.amdhsa_ieee_mode 1
		.amdhsa_fp16_overflow 0
		.amdhsa_workgroup_processor_mode 1
		.amdhsa_memory_ordered 1
		.amdhsa_forward_progress 0
		.amdhsa_shared_vgpr_count 0
		.amdhsa_exception_fp_ieee_invalid_op 0
		.amdhsa_exception_fp_denorm_src 0
		.amdhsa_exception_fp_ieee_div_zero 0
		.amdhsa_exception_fp_ieee_overflow 0
		.amdhsa_exception_fp_ieee_underflow 0
		.amdhsa_exception_fp_ieee_inexact 0
		.amdhsa_exception_int_div_zero 0
	.end_amdhsa_kernel
	.section	.text._ZN2at6native12_GLOBAL__N_125multi_tensor_apply_kernelINS1_32FusedOptimizerTensorListMetadataILi5EEENS1_22FusedAdamMathFunctorMPIfffN3c108BFloat16ES7_S7_Li5ELNS0_9ADAM_MODEE1ELb1EEEJPKfdddddbSB_SB_EEEvT_T0_DpT1_,"axG",@progbits,_ZN2at6native12_GLOBAL__N_125multi_tensor_apply_kernelINS1_32FusedOptimizerTensorListMetadataILi5EEENS1_22FusedAdamMathFunctorMPIfffN3c108BFloat16ES7_S7_Li5ELNS0_9ADAM_MODEE1ELb1EEEJPKfdddddbSB_SB_EEEvT_T0_DpT1_,comdat
.Lfunc_end0:
	.size	_ZN2at6native12_GLOBAL__N_125multi_tensor_apply_kernelINS1_32FusedOptimizerTensorListMetadataILi5EEENS1_22FusedAdamMathFunctorMPIfffN3c108BFloat16ES7_S7_Li5ELNS0_9ADAM_MODEE1ELb1EEEJPKfdddddbSB_SB_EEEvT_T0_DpT1_, .Lfunc_end0-_ZN2at6native12_GLOBAL__N_125multi_tensor_apply_kernelINS1_32FusedOptimizerTensorListMetadataILi5EEENS1_22FusedAdamMathFunctorMPIfffN3c108BFloat16ES7_S7_Li5ELNS0_9ADAM_MODEE1ELb1EEEJPKfdddddbSB_SB_EEEvT_T0_DpT1_
                                        ; -- End function
	.section	.AMDGPU.csdata,"",@progbits
; Kernel info:
; codeLenInByte = 13660
; NumSgprs: 107
; NumVgprs: 83
; ScratchSize: 0
; MemoryBound: 0
; FloatMode: 240
; IeeeMode: 1
; LDSByteSize: 0 bytes/workgroup (compile time only)
; SGPRBlocks: 13
; VGPRBlocks: 10
; NumSGPRsForWavesPerEU: 107
; NumVGPRsForWavesPerEU: 83
; Occupancy: 16
; WaveLimiterHint : 0
; COMPUTE_PGM_RSRC2:SCRATCH_EN: 0
; COMPUTE_PGM_RSRC2:USER_SGPR: 15
; COMPUTE_PGM_RSRC2:TRAP_HANDLER: 0
; COMPUTE_PGM_RSRC2:TGID_X_EN: 1
; COMPUTE_PGM_RSRC2:TGID_Y_EN: 0
; COMPUTE_PGM_RSRC2:TGID_Z_EN: 0
; COMPUTE_PGM_RSRC2:TIDIG_COMP_CNT: 0
	.section	.text._ZN2at6native12_GLOBAL__N_125multi_tensor_apply_kernelINS1_32FusedOptimizerTensorListMetadataILi5EEENS1_20FusedAdamMathFunctorIdLi5ELNS0_9ADAM_MODEE1ELb1EEEJPKfdddddbS9_S9_EEEvT_T0_DpT1_,"axG",@progbits,_ZN2at6native12_GLOBAL__N_125multi_tensor_apply_kernelINS1_32FusedOptimizerTensorListMetadataILi5EEENS1_20FusedAdamMathFunctorIdLi5ELNS0_9ADAM_MODEE1ELb1EEEJPKfdddddbS9_S9_EEEvT_T0_DpT1_,comdat
	.globl	_ZN2at6native12_GLOBAL__N_125multi_tensor_apply_kernelINS1_32FusedOptimizerTensorListMetadataILi5EEENS1_20FusedAdamMathFunctorIdLi5ELNS0_9ADAM_MODEE1ELb1EEEJPKfdddddbS9_S9_EEEvT_T0_DpT1_ ; -- Begin function _ZN2at6native12_GLOBAL__N_125multi_tensor_apply_kernelINS1_32FusedOptimizerTensorListMetadataILi5EEENS1_20FusedAdamMathFunctorIdLi5ELNS0_9ADAM_MODEE1ELb1EEEJPKfdddddbS9_S9_EEEvT_T0_DpT1_
	.p2align	8
	.type	_ZN2at6native12_GLOBAL__N_125multi_tensor_apply_kernelINS1_32FusedOptimizerTensorListMetadataILi5EEENS1_20FusedAdamMathFunctorIdLi5ELNS0_9ADAM_MODEE1ELb1EEEJPKfdddddbS9_S9_EEEvT_T0_DpT1_,@function
_ZN2at6native12_GLOBAL__N_125multi_tensor_apply_kernelINS1_32FusedOptimizerTensorListMetadataILi5EEENS1_20FusedAdamMathFunctorIdLi5ELNS0_9ADAM_MODEE1ELb1EEEJPKfdddddbS9_S9_EEEvT_T0_DpT1_: ; @_ZN2at6native12_GLOBAL__N_125multi_tensor_apply_kernelINS1_32FusedOptimizerTensorListMetadataILi5EEENS1_20FusedAdamMathFunctorIdLi5ELNS0_9ADAM_MODEE1ELb1EEEJPKfdddddbS9_S9_EEEvT_T0_DpT1_
; %bb.0:
	s_load_b256 s[4:11], s[0:1], 0xce0
	v_mov_b32_e32 v1, s15
	s_add_u32 s2, s0, s15
	s_mul_hi_u32 s12, s15, 3
	s_mul_i32 s15, s15, 3
	s_addc_u32 s13, s1, 0
	s_add_u32 s16, s2, s15
	s_addc_u32 s17, s13, s12
	s_waitcnt lgkmcnt(0)
	v_mov_b32_e32 v48, s7
	global_load_u8 v1, v1, s[0:1] offset:1680
	v_mov_b32_e32 v47, s6
	s_cmp_eq_u64 s[4:5], 0
	s_waitcnt vmcnt(0)
	v_readfirstlane_b32 s3, v1
	s_cbranch_scc1 .LBB1_2
; %bb.1:
	s_load_b32 s2, s[4:5], 0x0
	s_waitcnt lgkmcnt(0)
	v_cvt_f64_f32_e32 v[47:48], s2
.LBB1_2:
	s_load_b128 s[12:15], s[0:1], 0xd18
	s_waitcnt lgkmcnt(0)
	s_cmp_eq_u64 s[14:15], 0
	s_cselect_b32 s2, -1, 0
	s_delay_alu instid0(SALU_CYCLE_1)
	s_and_b32 vcc_lo, exec_lo, s2
	s_cbranch_vccnz .LBB1_4
; %bb.3:
	s_load_b32 s2, s[14:15], 0x0
	s_waitcnt lgkmcnt(0)
	v_cmp_neq_f32_e64 s2, s2, 1.0
.LBB1_4:
	s_delay_alu instid0(VALU_DEP_1)
	s_and_not1_b32 vcc_lo, exec_lo, s2
	s_cbranch_vccnz .LBB1_98
; %bb.5:
	s_load_b32 s2, s[0:1], 0xd10
	v_cmp_eq_f64_e64 s82, s[8:9], 1.0
	s_mov_b32 s14, 0x55555555
	s_mov_b32 s15, 0x3fe55555
	;; [unrolled: 1-line block ×18, first 2 shown]
	s_waitcnt lgkmcnt(0)
	s_bitcmp1_b32 s2, 0
	s_mov_b32 s43, 0x3fd24924
	s_cselect_b32 s2, -1, 0
	s_and_b32 s3, s3, 0xff
	s_mov_b32 s44, 0x9999999c
	s_lshl_b32 s33, s3, 3
	s_clause 0x1
	s_load_b64 s[4:5], s[0:1], s33 offset:0x5a0
	s_load_b64 s[30:31], s[0:1], s33 offset:0x4b0
	s_mov_b32 s45, 0x3fd99999
	s_mov_b32 s49, 0xbfe55555
	;; [unrolled: 1-line block ×18, first 2 shown]
	s_waitcnt lgkmcnt(0)
	s_load_b32 s3, s[4:5], 0x0
	s_mov_b32 s65, 0x3e5ade15
	s_mov_b32 s66, 0x623fde64
	;; [unrolled: 1-line block ×17, first 2 shown]
	v_cmp_eq_f64_e64 s90, s[10:11], 1.0
	s_waitcnt lgkmcnt(0)
	v_cvt_f64_f32_e32 v[1:2], s3
	s_and_b32 s3, s82, exec_lo
	s_delay_alu instid0(VALU_DEP_1) | instskip(NEXT) | instid1(VALU_DEP_2)
	v_readfirstlane_b32 s7, v2
	v_readfirstlane_b32 s86, v1
	s_delay_alu instid0(VALU_DEP_2) | instskip(NEXT) | instid1(VALU_DEP_1)
	s_cselect_b32 s19, 0x3ff00000, s7
	s_cselect_b32 s18, 0, s86
	s_delay_alu instid0(SALU_CYCLE_1) | instskip(NEXT) | instid1(VALU_DEP_1)
	v_cmp_eq_f64_e64 s3, s[18:19], 0
	s_and_b32 s4, s3, exec_lo
	s_cselect_b32 s37, 0x3ff00000, s9
	s_cselect_b32 s36, 0, s8
	s_and_b32 s4, s9, 0x7fffffff
	s_and_b32 s3, s3, exec_lo
	s_cselect_b32 s59, 0x3ff00000, s4
	s_cselect_b32 s58, 0, s8
	s_delay_alu instid0(SALU_CYCLE_1) | instskip(SKIP_1) | instid1(VALU_DEP_2)
	v_frexp_mant_f64_e32 v[1:2], s[58:59]
	v_frexp_exp_i32_f64_e32 v3, s[58:59]
	v_cmp_gt_f64_e32 vcc_lo, s[14:15], v[1:2]
	s_and_b32 s3, vcc_lo, exec_lo
	s_cselect_b32 s35, 2.0, 0x3ff00000
	s_delay_alu instid0(VALU_DEP_2) | instskip(SKIP_1) | instid1(VALU_DEP_1)
	v_subrev_co_ci_u32_e64 v21, s3, 0, v3, vcc_lo
	v_mul_f64 v[1:2], v[1:2], s[34:35]
	v_add_f64 v[3:4], v[1:2], 1.0
	v_add_f64 v[9:10], v[1:2], -1.0
	s_delay_alu instid0(VALU_DEP_2) | instskip(SKIP_1) | instid1(VALU_DEP_1)
	v_rcp_f64_e32 v[5:6], v[3:4]
	v_add_f64 v[11:12], v[3:4], -1.0
	v_add_f64 v[1:2], v[1:2], -v[11:12]
	s_waitcnt_depctr 0xfff
	v_fma_f64 v[7:8], -v[3:4], v[5:6], 1.0
	s_delay_alu instid0(VALU_DEP_1) | instskip(NEXT) | instid1(VALU_DEP_1)
	v_fma_f64 v[5:6], v[7:8], v[5:6], v[5:6]
	v_fma_f64 v[7:8], -v[3:4], v[5:6], 1.0
	s_delay_alu instid0(VALU_DEP_1) | instskip(NEXT) | instid1(VALU_DEP_1)
	v_fma_f64 v[5:6], v[7:8], v[5:6], v[5:6]
	v_mul_f64 v[7:8], v[9:10], v[5:6]
	s_delay_alu instid0(VALU_DEP_1) | instskip(NEXT) | instid1(VALU_DEP_1)
	v_mul_f64 v[13:14], v[3:4], v[7:8]
	v_fma_f64 v[3:4], v[7:8], v[3:4], -v[13:14]
	s_delay_alu instid0(VALU_DEP_1) | instskip(NEXT) | instid1(VALU_DEP_1)
	v_fma_f64 v[1:2], v[7:8], v[1:2], v[3:4]
	v_add_f64 v[3:4], v[13:14], v[1:2]
	s_delay_alu instid0(VALU_DEP_1) | instskip(SKIP_1) | instid1(VALU_DEP_2)
	v_add_f64 v[11:12], v[9:10], -v[3:4]
	v_add_f64 v[13:14], v[3:4], -v[13:14]
	;; [unrolled: 1-line block ×3, first 2 shown]
	s_delay_alu instid0(VALU_DEP_2) | instskip(NEXT) | instid1(VALU_DEP_2)
	v_add_f64 v[1:2], v[13:14], -v[1:2]
	v_add_f64 v[3:4], v[9:10], -v[3:4]
	s_delay_alu instid0(VALU_DEP_1) | instskip(NEXT) | instid1(VALU_DEP_1)
	v_add_f64 v[1:2], v[1:2], v[3:4]
	v_add_f64 v[1:2], v[11:12], v[1:2]
	s_delay_alu instid0(VALU_DEP_1) | instskip(NEXT) | instid1(VALU_DEP_1)
	v_mul_f64 v[1:2], v[5:6], v[1:2]
	v_add_f64 v[3:4], v[7:8], v[1:2]
	s_delay_alu instid0(VALU_DEP_1) | instskip(SKIP_1) | instid1(VALU_DEP_2)
	v_add_f64 v[5:6], v[3:4], -v[7:8]
	v_mul_f64 v[7:8], v[3:4], v[3:4]
	v_add_f64 v[1:2], v[1:2], -v[5:6]
	s_delay_alu instid0(VALU_DEP_2) | instskip(NEXT) | instid1(VALU_DEP_2)
	v_fma_f64 v[5:6], v[3:4], v[3:4], -v[7:8]
	v_add_f64 v[9:10], v[1:2], v[1:2]
	s_delay_alu instid0(VALU_DEP_1) | instskip(NEXT) | instid1(VALU_DEP_1)
	v_fma_f64 v[5:6], v[3:4], v[9:10], v[5:6]
	v_add_f64 v[9:10], v[7:8], v[5:6]
	s_delay_alu instid0(VALU_DEP_1) | instskip(SKIP_2) | instid1(VALU_DEP_3)
	v_fma_f64 v[11:12], v[9:10], s[22:23], s[20:21]
	v_add_f64 v[7:8], v[9:10], -v[7:8]
	v_mul_f64 v[17:18], v[3:4], v[9:10]
	v_fma_f64 v[11:12], v[9:10], v[11:12], s[24:25]
	s_delay_alu instid0(VALU_DEP_3) | instskip(NEXT) | instid1(VALU_DEP_2)
	v_add_f64 v[5:6], v[5:6], -v[7:8]
	v_fma_f64 v[11:12], v[9:10], v[11:12], s[26:27]
	s_delay_alu instid0(VALU_DEP_1) | instskip(NEXT) | instid1(VALU_DEP_1)
	v_fma_f64 v[11:12], v[9:10], v[11:12], s[28:29]
	v_fma_f64 v[11:12], v[9:10], v[11:12], s[38:39]
	s_delay_alu instid0(VALU_DEP_1) | instskip(NEXT) | instid1(VALU_DEP_1)
	v_fma_f64 v[11:12], v[9:10], v[11:12], s[40:41]
	;; [unrolled: 3-line block ×3, first 2 shown]
	v_mul_f64 v[13:14], v[9:10], v[11:12]
	s_delay_alu instid0(VALU_DEP_1) | instskip(NEXT) | instid1(VALU_DEP_1)
	v_fma_f64 v[7:8], v[9:10], v[11:12], -v[13:14]
	v_fma_f64 v[7:8], v[5:6], v[11:12], v[7:8]
	s_delay_alu instid0(VALU_DEP_1) | instskip(NEXT) | instid1(VALU_DEP_1)
	v_add_f64 v[11:12], v[13:14], v[7:8]
	v_add_f64 v[15:16], v[11:12], s[14:15]
	v_add_f64 v[13:14], v[11:12], -v[13:14]
	s_delay_alu instid0(VALU_DEP_2) | instskip(NEXT) | instid1(VALU_DEP_2)
	v_add_f64 v[19:20], v[15:16], s[48:49]
	v_add_f64 v[7:8], v[7:8], -v[13:14]
	v_fma_f64 v[13:14], v[9:10], v[3:4], -v[17:18]
	s_delay_alu instid0(VALU_DEP_3) | instskip(NEXT) | instid1(VALU_DEP_3)
	v_add_f64 v[11:12], v[11:12], -v[19:20]
	v_add_f64 v[7:8], v[7:8], s[50:51]
	s_delay_alu instid0(VALU_DEP_3) | instskip(SKIP_1) | instid1(VALU_DEP_3)
	v_fma_f64 v[9:10], v[9:10], v[1:2], v[13:14]
	v_ldexp_f64 v[1:2], v[1:2], 1
	v_add_f64 v[7:8], v[7:8], v[11:12]
	s_delay_alu instid0(VALU_DEP_3) | instskip(SKIP_1) | instid1(VALU_DEP_3)
	v_fma_f64 v[5:6], v[5:6], v[3:4], v[9:10]
	v_ldexp_f64 v[3:4], v[3:4], 1
	v_add_f64 v[9:10], v[15:16], v[7:8]
	s_delay_alu instid0(VALU_DEP_3) | instskip(NEXT) | instid1(VALU_DEP_2)
	v_add_f64 v[11:12], v[17:18], v[5:6]
	v_add_f64 v[13:14], v[15:16], -v[9:10]
	s_delay_alu instid0(VALU_DEP_2) | instskip(SKIP_1) | instid1(VALU_DEP_3)
	v_mul_f64 v[15:16], v[11:12], v[9:10]
	v_add_f64 v[17:18], v[11:12], -v[17:18]
	v_add_f64 v[7:8], v[7:8], v[13:14]
	s_delay_alu instid0(VALU_DEP_3) | instskip(NEXT) | instid1(VALU_DEP_3)
	v_fma_f64 v[13:14], v[11:12], v[9:10], -v[15:16]
	v_add_f64 v[5:6], v[5:6], -v[17:18]
	s_delay_alu instid0(VALU_DEP_2) | instskip(NEXT) | instid1(VALU_DEP_1)
	v_fma_f64 v[7:8], v[11:12], v[7:8], v[13:14]
	v_fma_f64 v[5:6], v[5:6], v[9:10], v[7:8]
	v_cvt_f64_i32_e32 v[9:10], v21
	s_delay_alu instid0(VALU_DEP_2) | instskip(NEXT) | instid1(VALU_DEP_1)
	v_add_f64 v[7:8], v[15:16], v[5:6]
	v_add_f64 v[11:12], v[3:4], v[7:8]
	v_add_f64 v[13:14], v[7:8], -v[15:16]
	s_delay_alu instid0(VALU_DEP_4) | instskip(NEXT) | instid1(VALU_DEP_3)
	v_mul_f64 v[15:16], v[9:10], s[46:47]
	v_add_f64 v[3:4], v[11:12], -v[3:4]
	s_delay_alu instid0(VALU_DEP_3) | instskip(NEXT) | instid1(VALU_DEP_3)
	v_add_f64 v[5:6], v[5:6], -v[13:14]
	v_fma_f64 v[13:14], v[9:10], s[46:47], -v[15:16]
	s_delay_alu instid0(VALU_DEP_3) | instskip(NEXT) | instid1(VALU_DEP_3)
	v_add_f64 v[3:4], v[7:8], -v[3:4]
	v_add_f64 v[1:2], v[1:2], v[5:6]
	s_delay_alu instid0(VALU_DEP_3) | instskip(NEXT) | instid1(VALU_DEP_2)
	v_fma_f64 v[5:6], v[9:10], s[52:53], v[13:14]
	v_add_f64 v[1:2], v[1:2], v[3:4]
	s_delay_alu instid0(VALU_DEP_2) | instskip(NEXT) | instid1(VALU_DEP_2)
	v_add_f64 v[3:4], v[15:16], v[5:6]
	v_add_f64 v[7:8], v[11:12], v[1:2]
	s_delay_alu instid0(VALU_DEP_2) | instskip(NEXT) | instid1(VALU_DEP_2)
	v_add_f64 v[15:16], v[3:4], -v[15:16]
	v_add_f64 v[9:10], v[3:4], v[7:8]
	v_add_f64 v[11:12], v[7:8], -v[11:12]
	s_delay_alu instid0(VALU_DEP_3) | instskip(NEXT) | instid1(VALU_DEP_3)
	v_add_f64 v[5:6], v[5:6], -v[15:16]
	v_add_f64 v[13:14], v[9:10], -v[3:4]
	s_delay_alu instid0(VALU_DEP_3) | instskip(NEXT) | instid1(VALU_DEP_2)
	v_add_f64 v[1:2], v[1:2], -v[11:12]
	v_add_f64 v[17:18], v[9:10], -v[13:14]
	;; [unrolled: 1-line block ×3, first 2 shown]
	s_delay_alu instid0(VALU_DEP_3) | instskip(NEXT) | instid1(VALU_DEP_3)
	v_add_f64 v[11:12], v[5:6], v[1:2]
	v_add_f64 v[3:4], v[3:4], -v[17:18]
	s_delay_alu instid0(VALU_DEP_1) | instskip(NEXT) | instid1(VALU_DEP_3)
	v_add_f64 v[3:4], v[7:8], v[3:4]
	v_add_f64 v[7:8], v[11:12], -v[5:6]
	s_delay_alu instid0(VALU_DEP_2) | instskip(NEXT) | instid1(VALU_DEP_2)
	v_add_f64 v[3:4], v[11:12], v[3:4]
	v_add_f64 v[11:12], v[11:12], -v[7:8]
	v_add_f64 v[1:2], v[1:2], -v[7:8]
	s_delay_alu instid0(VALU_DEP_3) | instskip(NEXT) | instid1(VALU_DEP_3)
	v_add_f64 v[13:14], v[9:10], v[3:4]
	v_add_f64 v[5:6], v[5:6], -v[11:12]
	s_delay_alu instid0(VALU_DEP_2) | instskip(NEXT) | instid1(VALU_DEP_2)
	v_add_f64 v[7:8], v[13:14], -v[9:10]
	v_add_f64 v[1:2], v[1:2], v[5:6]
	s_delay_alu instid0(VALU_DEP_2) | instskip(NEXT) | instid1(VALU_DEP_1)
	v_add_f64 v[3:4], v[3:4], -v[7:8]
	v_add_f64 v[1:2], v[1:2], v[3:4]
	s_delay_alu instid0(VALU_DEP_1) | instskip(NEXT) | instid1(VALU_DEP_1)
	v_add_f64 v[3:4], v[13:14], v[1:2]
	v_add_f64 v[5:6], v[3:4], -v[13:14]
	v_mul_f64 v[7:8], s[18:19], v[3:4]
	s_delay_alu instid0(VALU_DEP_2) | instskip(NEXT) | instid1(VALU_DEP_2)
	v_add_f64 v[1:2], v[1:2], -v[5:6]
	v_fma_f64 v[3:4], s[18:19], v[3:4], -v[7:8]
	v_cmp_class_f64_e64 vcc_lo, v[7:8], 0x204
	s_delay_alu instid0(VALU_DEP_2) | instskip(NEXT) | instid1(VALU_DEP_1)
	v_fma_f64 v[1:2], s[18:19], v[1:2], v[3:4]
	v_add_f64 v[3:4], v[7:8], v[1:2]
	s_delay_alu instid0(VALU_DEP_1) | instskip(SKIP_1) | instid1(VALU_DEP_2)
	v_dual_cndmask_b32 v6, v4, v8 :: v_dual_cndmask_b32 v5, v3, v7
	v_add_f64 v[3:4], v[3:4], -v[7:8]
	v_mul_f64 v[9:10], v[5:6], s[54:55]
	v_cmp_lt_f64_e32 vcc_lo, 0x40900000, v[5:6]
	v_cmp_neq_f64_e64 s3, 0x7ff00000, |v[5:6]|
	v_cmp_ngt_f64_e64 s4, 0xc090cc00, v[5:6]
	v_add_f64 v[1:2], v[1:2], -v[3:4]
	v_rndne_f64_e32 v[9:10], v[9:10]
	s_delay_alu instid0(VALU_DEP_2) | instskip(NEXT) | instid1(VALU_DEP_3)
	v_cndmask_b32_e64 v2, 0, v2, s3
	v_cndmask_b32_e64 v1, 0, v1, s3
	s_delay_alu instid0(VALU_DEP_3) | instskip(SKIP_1) | instid1(VALU_DEP_2)
	v_fma_f64 v[11:12], v[9:10], s[56:57], v[5:6]
	v_cvt_i32_f64_e32 v15, v[9:10]
	v_fma_f64 v[11:12], v[9:10], s[60:61], v[11:12]
	s_delay_alu instid0(VALU_DEP_1) | instskip(NEXT) | instid1(VALU_DEP_1)
	v_fma_f64 v[13:14], v[11:12], s[64:65], s[62:63]
	v_fma_f64 v[13:14], v[11:12], v[13:14], s[66:67]
	s_delay_alu instid0(VALU_DEP_1) | instskip(NEXT) | instid1(VALU_DEP_1)
	v_fma_f64 v[13:14], v[11:12], v[13:14], s[68:69]
	;; [unrolled: 3-line block ×5, first 2 shown]
	v_fma_f64 v[13:14], v[11:12], v[13:14], 1.0
	s_delay_alu instid0(VALU_DEP_1) | instskip(SKIP_1) | instid1(VALU_DEP_2)
	v_fma_f64 v[9:10], v[11:12], v[13:14], 1.0
	v_mul_f64 v[11:12], s[18:19], 0.5
	v_ldexp_f64 v[7:8], v[9:10], v15
	v_trunc_f64_e32 v[9:10], s[18:19]
	s_delay_alu instid0(VALU_DEP_3) | instskip(NEXT) | instid1(VALU_DEP_3)
	v_trunc_f64_e32 v[13:14], v[11:12]
	v_cndmask_b32_e64 v3, v7, 0, vcc_lo
	s_delay_alu instid0(VALU_DEP_4) | instskip(NEXT) | instid1(VALU_DEP_4)
	v_cndmask_b32_e64 v4, v8, 0x7ff00000, vcc_lo
	v_cmp_eq_f64_e64 s5, s[18:19], v[9:10]
	s_delay_alu instid0(VALU_DEP_4) | instskip(NEXT) | instid1(VALU_DEP_4)
	v_cmp_neq_f64_e64 s6, v[13:14], v[11:12]
	v_cndmask_b32_e64 v3, 0, v3, s4
	s_delay_alu instid0(VALU_DEP_4) | instskip(NEXT) | instid1(VALU_DEP_1)
	v_cndmask_b32_e64 v4, 0, v4, s4
	v_fma_f64 v[1:2], v[3:4], v[1:2], v[3:4]
	v_and_b32_e32 v8, 0x7fffffff, v8
	s_delay_alu instid0(VALU_DEP_1) | instskip(SKIP_1) | instid1(VALU_DEP_1)
	v_cmp_eq_f64_e64 s3, 0x7ff00000, v[7:8]
	s_and_b32 s6, s5, s6
	s_or_b32 s3, vcc_lo, s3
	s_delay_alu instid0(SALU_CYCLE_1) | instskip(SKIP_1) | instid1(VALU_DEP_3)
	s_and_b32 vcc_lo, s4, s3
	s_and_b32 s3, s6, exec_lo
	v_cndmask_b32_e32 v1, v1, v3, vcc_lo
	s_cselect_b32 s3, s37, 0x3ff00000
	s_and_b32 s89, s7, 0x7fffffff
	s_and_b32 s4, s82, exec_lo
	s_cselect_b32 s83, 0x3ff00000, s89
	s_cselect_b32 s82, 0, s86
	s_delay_alu instid0(VALU_DEP_4)
	v_cndmask_b32_e32 v2, v2, v4, vcc_lo
	v_cmp_lt_f64_e64 s4, s[58:59], 1.0
	v_cmp_neq_f64_e64 s35, s[18:19], s[82:83]
	v_cmp_lt_f64_e64 vcc_lo, s[36:37], 0
	v_cndmask_b32_e64 v4, 0, v1, s5
	v_bfi_b32 v2, 0x7fffffff, v2, s3
	v_cmp_eq_f64_e64 s3, s[58:59], 1.0
	s_delay_alu instid0(VALU_DEP_2)
	v_cndmask_b32_e64 v3, 0x7ff80000, v2, s5
	v_cmp_lt_f64_e64 s5, s[18:19], 0
	s_xor_b32 s4, s35, s4
	v_cmp_eq_f64_e64 s35, s[36:37], 0
	s_and_b32 s4, s4, exec_lo
	s_cselect_b32 s4, 0, s83
	s_cselect_b32 s84, 0, s82
	s_delay_alu instid0(VALU_DEP_4)
	s_and_b32 s3, s3, exec_lo
	s_cselect_b32 s3, s59, s4
	v_cmp_eq_f64_e64 s59, 0x7ff00000, s[58:59]
	v_cmp_eq_f64_e64 s4, 0x7ff00000, s[82:83]
	v_dual_cndmask_b32 v1, v1, v4 :: v_dual_cndmask_b32 v2, v2, v3
	s_cselect_b32 s58, s58, s84
	s_delay_alu instid0(VALU_DEP_4) | instskip(NEXT) | instid1(VALU_DEP_3)
	s_xor_b32 s5, s5, s35
	s_or_b32 vcc_lo, s59, s35
	s_delay_alu instid0(VALU_DEP_1)
	v_cndmask_b32_e64 v21, v2, s3, s4
	s_and_b32 s3, s5, exec_lo
	s_cselect_b32 s87, 0, 0x7ff00000
	s_and_b32 s3, s6, exec_lo
	s_cselect_b32 s88, s37, 0
	s_and_b32 s3, s90, exec_lo
	v_cndmask_b32_e64 v22, v1, s58, s4
	s_cselect_b32 s59, 0x3ff00000, s7
	s_cselect_b32 s58, 0, s86
	s_delay_alu instid0(SALU_CYCLE_1) | instskip(NEXT) | instid1(VALU_DEP_1)
	v_cmp_eq_f64_e64 s3, s[58:59], 0
	s_and_b32 s4, s3, exec_lo
	s_cselect_b32 s83, 0x3ff00000, s11
	s_cselect_b32 s82, 0, s10
	s_and_b32 s4, s11, 0x7fffffff
	s_and_b32 s3, s3, exec_lo
	s_cselect_b32 s85, 0x3ff00000, s4
	s_cselect_b32 s84, 0, s10
	s_delay_alu instid0(SALU_CYCLE_1) | instskip(SKIP_1) | instid1(VALU_DEP_2)
	v_frexp_mant_f64_e32 v[1:2], s[84:85]
	v_frexp_exp_i32_f64_e32 v3, s[84:85]
	v_cmp_gt_f64_e64 s3, s[14:15], v[1:2]
	s_delay_alu instid0(VALU_DEP_1) | instskip(SKIP_2) | instid1(SALU_CYCLE_1)
	v_subrev_co_ci_u32_e64 v23, s4, 0, v3, s3
	s_and_b32 s3, s3, exec_lo
	s_cselect_b32 s35, 2.0, 0x3ff00000
	v_mul_f64 v[1:2], v[1:2], s[34:35]
	s_delay_alu instid0(VALU_DEP_1) | instskip(SKIP_1) | instid1(VALU_DEP_2)
	v_add_f64 v[3:4], v[1:2], 1.0
	v_add_f64 v[9:10], v[1:2], -1.0
	v_rcp_f64_e32 v[5:6], v[3:4]
	v_add_f64 v[11:12], v[3:4], -1.0
	s_delay_alu instid0(VALU_DEP_1) | instskip(SKIP_2) | instid1(VALU_DEP_1)
	v_add_f64 v[1:2], v[1:2], -v[11:12]
	s_waitcnt_depctr 0xfff
	v_fma_f64 v[7:8], -v[3:4], v[5:6], 1.0
	v_fma_f64 v[5:6], v[7:8], v[5:6], v[5:6]
	s_delay_alu instid0(VALU_DEP_1) | instskip(NEXT) | instid1(VALU_DEP_1)
	v_fma_f64 v[7:8], -v[3:4], v[5:6], 1.0
	v_fma_f64 v[5:6], v[7:8], v[5:6], v[5:6]
	s_delay_alu instid0(VALU_DEP_1) | instskip(NEXT) | instid1(VALU_DEP_1)
	v_mul_f64 v[7:8], v[9:10], v[5:6]
	v_mul_f64 v[13:14], v[3:4], v[7:8]
	s_delay_alu instid0(VALU_DEP_1) | instskip(NEXT) | instid1(VALU_DEP_1)
	v_fma_f64 v[3:4], v[7:8], v[3:4], -v[13:14]
	v_fma_f64 v[1:2], v[7:8], v[1:2], v[3:4]
	s_delay_alu instid0(VALU_DEP_1) | instskip(NEXT) | instid1(VALU_DEP_1)
	v_add_f64 v[3:4], v[13:14], v[1:2]
	v_add_f64 v[11:12], v[9:10], -v[3:4]
	v_add_f64 v[13:14], v[3:4], -v[13:14]
	s_delay_alu instid0(VALU_DEP_2) | instskip(NEXT) | instid1(VALU_DEP_2)
	v_add_f64 v[9:10], v[9:10], -v[11:12]
	v_add_f64 v[1:2], v[13:14], -v[1:2]
	s_delay_alu instid0(VALU_DEP_2) | instskip(NEXT) | instid1(VALU_DEP_1)
	v_add_f64 v[3:4], v[9:10], -v[3:4]
	v_add_f64 v[1:2], v[1:2], v[3:4]
	s_delay_alu instid0(VALU_DEP_1) | instskip(NEXT) | instid1(VALU_DEP_1)
	v_add_f64 v[1:2], v[11:12], v[1:2]
	v_mul_f64 v[1:2], v[5:6], v[1:2]
	s_delay_alu instid0(VALU_DEP_1) | instskip(NEXT) | instid1(VALU_DEP_1)
	v_add_f64 v[3:4], v[7:8], v[1:2]
	v_add_f64 v[5:6], v[3:4], -v[7:8]
	v_mul_f64 v[7:8], v[3:4], v[3:4]
	s_delay_alu instid0(VALU_DEP_2) | instskip(NEXT) | instid1(VALU_DEP_2)
	v_add_f64 v[1:2], v[1:2], -v[5:6]
	v_fma_f64 v[5:6], v[3:4], v[3:4], -v[7:8]
	s_delay_alu instid0(VALU_DEP_2) | instskip(NEXT) | instid1(VALU_DEP_1)
	v_add_f64 v[9:10], v[1:2], v[1:2]
	v_fma_f64 v[5:6], v[3:4], v[9:10], v[5:6]
	s_delay_alu instid0(VALU_DEP_1) | instskip(NEXT) | instid1(VALU_DEP_1)
	v_add_f64 v[9:10], v[7:8], v[5:6]
	v_fma_f64 v[11:12], v[9:10], s[22:23], s[20:21]
	v_add_f64 v[7:8], v[9:10], -v[7:8]
	v_mul_f64 v[17:18], v[3:4], v[9:10]
	s_delay_alu instid0(VALU_DEP_3) | instskip(NEXT) | instid1(VALU_DEP_3)
	v_fma_f64 v[11:12], v[9:10], v[11:12], s[24:25]
	v_add_f64 v[5:6], v[5:6], -v[7:8]
	s_delay_alu instid0(VALU_DEP_2) | instskip(NEXT) | instid1(VALU_DEP_1)
	v_fma_f64 v[11:12], v[9:10], v[11:12], s[26:27]
	v_fma_f64 v[11:12], v[9:10], v[11:12], s[28:29]
	s_delay_alu instid0(VALU_DEP_1) | instskip(NEXT) | instid1(VALU_DEP_1)
	v_fma_f64 v[11:12], v[9:10], v[11:12], s[38:39]
	v_fma_f64 v[11:12], v[9:10], v[11:12], s[40:41]
	s_delay_alu instid0(VALU_DEP_1) | instskip(NEXT) | instid1(VALU_DEP_1)
	;; [unrolled: 3-line block ×3, first 2 shown]
	v_mul_f64 v[13:14], v[9:10], v[11:12]
	v_fma_f64 v[7:8], v[9:10], v[11:12], -v[13:14]
	s_delay_alu instid0(VALU_DEP_1) | instskip(NEXT) | instid1(VALU_DEP_1)
	v_fma_f64 v[7:8], v[5:6], v[11:12], v[7:8]
	v_add_f64 v[11:12], v[13:14], v[7:8]
	s_delay_alu instid0(VALU_DEP_1) | instskip(SKIP_2) | instid1(VALU_DEP_3)
	v_add_f64 v[15:16], v[11:12], s[14:15]
	v_add_f64 v[13:14], v[11:12], -v[13:14]
	v_cmp_lt_f64_e64 s15, s[84:85], 1.0
	v_add_f64 v[19:20], v[15:16], s[48:49]
	s_delay_alu instid0(VALU_DEP_3) | instskip(SKIP_1) | instid1(VALU_DEP_3)
	v_add_f64 v[7:8], v[7:8], -v[13:14]
	v_fma_f64 v[13:14], v[9:10], v[3:4], -v[17:18]
	v_add_f64 v[11:12], v[11:12], -v[19:20]
	s_delay_alu instid0(VALU_DEP_3) | instskip(NEXT) | instid1(VALU_DEP_3)
	v_add_f64 v[7:8], v[7:8], s[50:51]
	v_fma_f64 v[9:10], v[9:10], v[1:2], v[13:14]
	v_ldexp_f64 v[1:2], v[1:2], 1
	s_delay_alu instid0(VALU_DEP_3) | instskip(NEXT) | instid1(VALU_DEP_3)
	v_add_f64 v[7:8], v[7:8], v[11:12]
	v_fma_f64 v[5:6], v[5:6], v[3:4], v[9:10]
	v_ldexp_f64 v[3:4], v[3:4], 1
	s_delay_alu instid0(VALU_DEP_3) | instskip(NEXT) | instid1(VALU_DEP_3)
	v_add_f64 v[9:10], v[15:16], v[7:8]
	v_add_f64 v[11:12], v[17:18], v[5:6]
	s_delay_alu instid0(VALU_DEP_2) | instskip(NEXT) | instid1(VALU_DEP_2)
	v_add_f64 v[13:14], v[15:16], -v[9:10]
	v_mul_f64 v[15:16], v[11:12], v[9:10]
	v_add_f64 v[17:18], v[11:12], -v[17:18]
	s_delay_alu instid0(VALU_DEP_3) | instskip(NEXT) | instid1(VALU_DEP_3)
	v_add_f64 v[7:8], v[7:8], v[13:14]
	v_fma_f64 v[13:14], v[11:12], v[9:10], -v[15:16]
	s_delay_alu instid0(VALU_DEP_3) | instskip(NEXT) | instid1(VALU_DEP_2)
	v_add_f64 v[5:6], v[5:6], -v[17:18]
	v_fma_f64 v[7:8], v[11:12], v[7:8], v[13:14]
	s_delay_alu instid0(VALU_DEP_1) | instskip(SKIP_1) | instid1(VALU_DEP_2)
	v_fma_f64 v[5:6], v[5:6], v[9:10], v[7:8]
	v_cvt_f64_i32_e32 v[9:10], v23
	v_add_f64 v[7:8], v[15:16], v[5:6]
	s_delay_alu instid0(VALU_DEP_1) | instskip(SKIP_1) | instid1(VALU_DEP_4)
	v_add_f64 v[11:12], v[3:4], v[7:8]
	v_add_f64 v[13:14], v[7:8], -v[15:16]
	v_mul_f64 v[15:16], v[9:10], s[46:47]
	s_delay_alu instid0(VALU_DEP_3) | instskip(NEXT) | instid1(VALU_DEP_3)
	v_add_f64 v[3:4], v[11:12], -v[3:4]
	v_add_f64 v[5:6], v[5:6], -v[13:14]
	s_delay_alu instid0(VALU_DEP_3) | instskip(NEXT) | instid1(VALU_DEP_3)
	v_fma_f64 v[13:14], v[9:10], s[46:47], -v[15:16]
	v_add_f64 v[3:4], v[7:8], -v[3:4]
	s_delay_alu instid0(VALU_DEP_3) | instskip(NEXT) | instid1(VALU_DEP_3)
	v_add_f64 v[1:2], v[1:2], v[5:6]
	v_fma_f64 v[5:6], v[9:10], s[52:53], v[13:14]
	s_delay_alu instid0(VALU_DEP_2) | instskip(NEXT) | instid1(VALU_DEP_2)
	v_add_f64 v[1:2], v[1:2], v[3:4]
	v_add_f64 v[3:4], v[15:16], v[5:6]
	s_delay_alu instid0(VALU_DEP_2) | instskip(NEXT) | instid1(VALU_DEP_2)
	v_add_f64 v[7:8], v[11:12], v[1:2]
	v_add_f64 v[15:16], v[3:4], -v[15:16]
	s_delay_alu instid0(VALU_DEP_2) | instskip(SKIP_1) | instid1(VALU_DEP_3)
	v_add_f64 v[9:10], v[3:4], v[7:8]
	v_add_f64 v[11:12], v[7:8], -v[11:12]
	v_add_f64 v[5:6], v[5:6], -v[15:16]
	s_delay_alu instid0(VALU_DEP_3) | instskip(NEXT) | instid1(VALU_DEP_3)
	v_add_f64 v[13:14], v[9:10], -v[3:4]
	v_add_f64 v[1:2], v[1:2], -v[11:12]
	s_delay_alu instid0(VALU_DEP_2) | instskip(SKIP_1) | instid1(VALU_DEP_3)
	v_add_f64 v[17:18], v[9:10], -v[13:14]
	v_add_f64 v[7:8], v[7:8], -v[13:14]
	v_add_f64 v[11:12], v[5:6], v[1:2]
	s_delay_alu instid0(VALU_DEP_3) | instskip(NEXT) | instid1(VALU_DEP_1)
	v_add_f64 v[3:4], v[3:4], -v[17:18]
	v_add_f64 v[3:4], v[7:8], v[3:4]
	s_delay_alu instid0(VALU_DEP_3) | instskip(NEXT) | instid1(VALU_DEP_2)
	v_add_f64 v[7:8], v[11:12], -v[5:6]
	v_add_f64 v[3:4], v[11:12], v[3:4]
	s_delay_alu instid0(VALU_DEP_2) | instskip(SKIP_1) | instid1(VALU_DEP_3)
	v_add_f64 v[11:12], v[11:12], -v[7:8]
	v_add_f64 v[1:2], v[1:2], -v[7:8]
	v_add_f64 v[13:14], v[9:10], v[3:4]
	s_delay_alu instid0(VALU_DEP_3) | instskip(NEXT) | instid1(VALU_DEP_2)
	v_add_f64 v[5:6], v[5:6], -v[11:12]
	v_add_f64 v[7:8], v[13:14], -v[9:10]
	s_delay_alu instid0(VALU_DEP_2) | instskip(NEXT) | instid1(VALU_DEP_2)
	v_add_f64 v[1:2], v[1:2], v[5:6]
	v_add_f64 v[3:4], v[3:4], -v[7:8]
	s_delay_alu instid0(VALU_DEP_1) | instskip(NEXT) | instid1(VALU_DEP_1)
	v_add_f64 v[1:2], v[1:2], v[3:4]
	v_add_f64 v[3:4], v[13:14], v[1:2]
	s_delay_alu instid0(VALU_DEP_1) | instskip(SKIP_1) | instid1(VALU_DEP_2)
	v_add_f64 v[5:6], v[3:4], -v[13:14]
	v_mul_f64 v[7:8], s[58:59], v[3:4]
	v_add_f64 v[1:2], v[1:2], -v[5:6]
	s_delay_alu instid0(VALU_DEP_2) | instskip(SKIP_1) | instid1(VALU_DEP_2)
	v_fma_f64 v[3:4], s[58:59], v[3:4], -v[7:8]
	v_cmp_class_f64_e64 s3, v[7:8], 0x204
	v_fma_f64 v[1:2], s[58:59], v[1:2], v[3:4]
	s_delay_alu instid0(VALU_DEP_1) | instskip(NEXT) | instid1(VALU_DEP_1)
	v_add_f64 v[3:4], v[7:8], v[1:2]
	v_cndmask_b32_e64 v6, v4, v8, s3
	s_delay_alu instid0(VALU_DEP_2) | instskip(SKIP_1) | instid1(VALU_DEP_2)
	v_cndmask_b32_e64 v5, v3, v7, s3
	v_add_f64 v[3:4], v[3:4], -v[7:8]
	v_mul_f64 v[9:10], v[5:6], s[54:55]
	v_cmp_lt_f64_e64 s3, 0x40900000, v[5:6]
	v_cmp_neq_f64_e64 s4, 0x7ff00000, |v[5:6]|
	v_cmp_ngt_f64_e64 s5, 0xc090cc00, v[5:6]
	v_add_f64 v[1:2], v[1:2], -v[3:4]
	v_rndne_f64_e32 v[9:10], v[9:10]
	s_delay_alu instid0(VALU_DEP_2) | instskip(NEXT) | instid1(VALU_DEP_3)
	v_cndmask_b32_e64 v2, 0, v2, s4
	v_cndmask_b32_e64 v1, 0, v1, s4
	s_delay_alu instid0(VALU_DEP_3) | instskip(SKIP_1) | instid1(VALU_DEP_2)
	v_fma_f64 v[11:12], v[9:10], s[56:57], v[5:6]
	v_cvt_i32_f64_e32 v15, v[9:10]
	v_fma_f64 v[11:12], v[9:10], s[60:61], v[11:12]
	s_delay_alu instid0(VALU_DEP_1) | instskip(NEXT) | instid1(VALU_DEP_1)
	v_fma_f64 v[13:14], v[11:12], s[64:65], s[62:63]
	v_fma_f64 v[13:14], v[11:12], v[13:14], s[66:67]
	s_delay_alu instid0(VALU_DEP_1) | instskip(NEXT) | instid1(VALU_DEP_1)
	v_fma_f64 v[13:14], v[11:12], v[13:14], s[68:69]
	v_fma_f64 v[13:14], v[11:12], v[13:14], s[70:71]
	s_delay_alu instid0(VALU_DEP_1) | instskip(NEXT) | instid1(VALU_DEP_1)
	v_fma_f64 v[13:14], v[11:12], v[13:14], s[72:73]
	v_fma_f64 v[13:14], v[11:12], v[13:14], s[74:75]
	s_delay_alu instid0(VALU_DEP_1) | instskip(NEXT) | instid1(VALU_DEP_1)
	v_fma_f64 v[13:14], v[11:12], v[13:14], s[76:77]
	v_fma_f64 v[13:14], v[11:12], v[13:14], s[78:79]
	s_delay_alu instid0(VALU_DEP_1) | instskip(NEXT) | instid1(VALU_DEP_1)
	v_fma_f64 v[13:14], v[11:12], v[13:14], s[80:81]
	v_fma_f64 v[13:14], v[11:12], v[13:14], 1.0
	s_delay_alu instid0(VALU_DEP_1) | instskip(SKIP_1) | instid1(VALU_DEP_2)
	v_fma_f64 v[9:10], v[11:12], v[13:14], 1.0
	v_mul_f64 v[11:12], s[58:59], 0.5
	v_ldexp_f64 v[7:8], v[9:10], v15
	v_trunc_f64_e32 v[9:10], s[58:59]
	s_delay_alu instid0(VALU_DEP_3) | instskip(NEXT) | instid1(VALU_DEP_3)
	v_trunc_f64_e32 v[13:14], v[11:12]
	v_cndmask_b32_e64 v4, v8, 0x7ff00000, s3
	v_and_b32_e32 v8, 0x7fffffff, v8
	v_cndmask_b32_e64 v3, v7, 0, s3
	v_cmp_eq_f64_e64 s6, s[58:59], v[9:10]
	v_cmp_neq_f64_e64 s7, v[13:14], v[11:12]
	v_cndmask_b32_e64 v4, 0, v4, s5
	v_cmp_eq_f64_e64 s4, 0x7ff00000, v[7:8]
	v_cndmask_b32_e64 v3, 0, v3, s5
	s_delay_alu instid0(VALU_DEP_1) | instskip(SKIP_1) | instid1(VALU_DEP_3)
	v_fma_f64 v[1:2], v[3:4], v[1:2], v[3:4]
	s_and_b32 s7, s6, s7
	s_or_b32 s3, s3, s4
	s_delay_alu instid0(SALU_CYCLE_1)
	s_and_b32 s3, s5, s3
	s_and_b32 s4, s7, exec_lo
	s_cselect_b32 s14, s83, 0x3ff00000
	s_and_b32 s4, s90, exec_lo
	s_cselect_b32 s5, 0x3ff00000, s89
	s_cselect_b32 s4, 0, s86
	s_delay_alu instid0(VALU_DEP_1) | instskip(SKIP_1) | instid1(VALU_DEP_3)
	v_cndmask_b32_e64 v1, v1, v3, s3
	v_cmp_neq_f64_e64 s20, s[58:59], s[4:5]
	v_cndmask_b32_e64 v2, v2, v4, s3
	v_cmp_lt_f64_e64 s3, s[82:83], 0
	s_delay_alu instid0(VALU_DEP_4) | instskip(NEXT) | instid1(VALU_DEP_3)
	v_cndmask_b32_e64 v4, 0, v1, s6
	v_bfi_b32 v2, 0x7fffffff, v2, s14
	v_cmp_eq_f64_e64 s14, s[84:85], 1.0
	s_delay_alu instid0(VALU_DEP_2)
	v_cndmask_b32_e64 v3, 0x7ff80000, v2, s6
	v_cmp_lt_f64_e64 s6, s[58:59], 0
	s_xor_b32 s15, s20, s15
	v_cmp_eq_f64_e64 s20, s[82:83], 0
	s_and_b32 s15, s15, exec_lo
	s_cselect_b32 s21, 0, s4
	v_cndmask_b32_e64 v1, v1, v4, s3
	v_cndmask_b32_e64 v2, v2, v3, s3
	v_cmp_eq_f64_e64 s3, 0x7ff00000, s[4:5]
	v_cmp_eq_f64_e64 s4, 0x7ff00000, s[84:85]
	s_cselect_b32 s15, 0, s5
	s_and_b32 s14, s14, exec_lo
	s_cselect_b32 s14, s85, s15
	s_cselect_b32 s5, s84, s21
	s_xor_b32 s6, s6, s20
	s_delay_alu instid0(VALU_DEP_2) | instskip(SKIP_1) | instid1(VALU_DEP_3)
	v_cndmask_b32_e64 v2, v2, s14, s3
	v_cndmask_b32_e64 v1, v1, s5, s3
	s_or_b32 s3, s4, s20
	s_and_b32 s4, s6, exec_lo
	s_cselect_b32 s4, 0, 0x7ff00000
	s_and_b32 s5, s7, exec_lo
	s_cselect_b32 s5, s83, 0
	v_cndmask_b32_e64 v1, v1, 0, s3
	v_mov_b32_e32 v3, s5
	s_delay_alu instid0(VALU_DEP_1)
	v_bfi_b32 v3, 0x7fffffff, s4, v3
	s_clause 0x5
	s_load_b32 s4, s[16:17], 0x7d0
	s_load_b64 s[20:21], s[0:1], s33 offset:0x0
	s_load_b64 s[22:23], s[0:1], s33 offset:0xf0
	;; [unrolled: 1-line block ×5, first 2 shown]
	v_cndmask_b32_e64 v2, v2, v3, s3
	v_cmp_o_f64_e64 s3, s[82:83], s[58:59]
	s_mov_b32 s17, s34
	s_delay_alu instid0(VALU_DEP_2) | instskip(NEXT) | instid1(VALU_DEP_1)
	v_add_f64 v[1:2], -v[1:2], 1.0
	v_cndmask_b32_e64 v2, 0x7ff80000, v2, s3
	s_delay_alu instid0(VALU_DEP_2) | instskip(NEXT) | instid1(VALU_DEP_1)
	v_cndmask_b32_e64 v1, 0, v1, s3
	v_cmp_gt_f64_e64 s3, 0x10000000, v[1:2]
	s_delay_alu instid0(VALU_DEP_1)
	v_cndmask_b32_e64 v3, 0, 1, s3
	s_and_b32 s3, s3, exec_lo
	s_cselect_b32 s3, 0xffffff80, 0
	s_waitcnt lgkmcnt(0)
	s_ashr_i32 s5, s4, 31
	v_lshlrev_b32_e32 v3, 8, v3
	s_lshl_b64 s[6:7], s[4:5], 16
	s_delay_alu instid0(SALU_CYCLE_1) | instskip(SKIP_1) | instid1(VALU_DEP_1)
	s_sub_u32 s6, s30, s6
	s_subb_u32 s7, s31, s7
	v_ldexp_f64 v[1:2], v[1:2], v3
	s_lshl_b64 s[14:15], s[4:5], 19
	s_mov_b32 s5, s34
	s_add_u32 s31, s20, s14
	s_addc_u32 s33, s21, s15
	s_and_b32 s43, s31, 31
	s_add_u32 s35, s22, s14
	s_addc_u32 s38, s23, s15
	s_and_b32 s16, s35, 31
	s_delay_alu instid0(SALU_CYCLE_1) | instskip(SKIP_1) | instid1(VALU_DEP_1)
	s_cmp_lg_u64 s[16:17], 0
	s_cselect_b32 s44, -1, 0
	v_rsq_f64_e32 v[3:4], v[1:2]
	s_waitcnt_depctr 0xfff
	v_mul_f64 v[5:6], v[1:2], v[3:4]
	v_mul_f64 v[3:4], v[3:4], 0.5
	s_delay_alu instid0(VALU_DEP_1) | instskip(NEXT) | instid1(VALU_DEP_1)
	v_fma_f64 v[7:8], -v[3:4], v[5:6], 0.5
	v_fma_f64 v[5:6], v[5:6], v[7:8], v[5:6]
	v_fma_f64 v[3:4], v[3:4], v[7:8], v[3:4]
	s_delay_alu instid0(VALU_DEP_2) | instskip(NEXT) | instid1(VALU_DEP_1)
	v_fma_f64 v[7:8], -v[5:6], v[5:6], v[1:2]
	v_fma_f64 v[5:6], v[7:8], v[3:4], v[5:6]
	s_delay_alu instid0(VALU_DEP_1) | instskip(NEXT) | instid1(VALU_DEP_1)
	v_fma_f64 v[7:8], -v[5:6], v[5:6], v[1:2]
	v_fma_f64 v[3:4], v[7:8], v[3:4], v[5:6]
	v_mov_b32_e32 v5, s88
	s_delay_alu instid0(VALU_DEP_1) | instskip(SKIP_1) | instid1(VALU_DEP_2)
	v_bfi_b32 v6, 0x7fffffff, s87, v5
	v_cndmask_b32_e64 v5, v22, 0, vcc_lo
	v_cndmask_b32_e32 v6, v21, v6, vcc_lo
	v_cmp_o_f64_e64 vcc_lo, s[36:37], s[18:19]
	s_add_u32 s36, s24, s14
	s_addc_u32 s37, s25, s15
	s_and_b32 s4, s36, 31
	v_add_f64 v[5:6], -v[5:6], 1.0
	s_cmp_lg_u64 s[4:5], 0
	s_load_b128 s[16:19], s[0:1], 0xd00
	s_cselect_b32 s4, -1, 0
	s_add_u32 s39, s26, s14
	s_addc_u32 s40, s27, s15
	s_add_u32 s41, s28, s14
	s_addc_u32 s42, s29, s15
	s_or_b32 s5, s41, s39
	s_delay_alu instid0(SALU_CYCLE_1) | instskip(NEXT) | instid1(SALU_CYCLE_1)
	s_and_b32 s5, s5, 31
	s_cmp_lg_u32 s5, 0
	s_mov_b32 s5, s34
	s_cselect_b32 s34, -1, 0
	s_and_b32 s30, s30, 3
	s_or_b32 s34, s34, s4
	s_or_b32 s4, s43, s30
	;; [unrolled: 1-line block ×3, first 2 shown]
	s_cmp_lg_u64 s[4:5], 0
	s_cselect_b32 s4, -1, 0
	v_ldexp_f64 v[3:4], v[3:4], s3
	v_cmp_class_f64_e64 s3, v[1:2], 0x260
	s_or_b32 s4, s30, s4
	s_delay_alu instid0(VALU_DEP_3) | instskip(NEXT) | instid1(VALU_DEP_4)
	v_cndmask_b32_e32 v52, 0x7ff80000, v6, vcc_lo
	v_cndmask_b32_e32 v51, 0, v5, vcc_lo
	s_and_not1_b32 vcc_lo, exec_lo, s4
	s_delay_alu instid0(VALU_DEP_3)
	v_cndmask_b32_e64 v50, v4, v2, s3
	v_cndmask_b32_e64 v49, v3, v1, s3
	s_mov_b32 s3, -1
	s_cbranch_vccz .LBB1_20
; %bb.6:
	v_dual_mov_b32 v54, 0 :: v_dual_lshlrev_b32 v53, 2, v0
	s_mov_b32 s30, exec_lo
	s_delay_alu instid0(VALU_DEP_1)
	v_cmpx_gt_i64_e64 s[6:7], v[53:54]
	s_cbranch_execz .LBB1_19
; %bb.7:
	v_div_scale_f64 v[1:2], null, v[51:52], v[51:52], v[47:48]
	s_waitcnt lgkmcnt(0)
	v_cmp_neq_f64_e64 s3, s[16:17], 0
	v_mul_f64 v[55:56], v[47:48], s[16:17]
	s_load_b32 s4, s[0:1], 0xd34
	s_cmp_lg_u64 s[12:13], 0
	s_mov_b32 s43, 0
	s_cselect_b32 s34, -1, 0
	s_waitcnt lgkmcnt(0)
	s_and_b32 s4, s4, 0xffff
	s_delay_alu instid0(SALU_CYCLE_1) | instskip(SKIP_3) | instid1(VALU_DEP_2)
	v_add_lshl_u32 v53, v0, s4, 2
	v_dual_mov_b32 v60, v54 :: v_dual_lshlrev_b32 v71, 5, v0
	s_lshl_b32 s44, s4, 2
	s_lshl_b32 s45, s4, 5
	v_mov_b32_e32 v59, v53
	v_rcp_f64_e32 v[3:4], v[1:2]
	s_waitcnt_depctr 0xfff
	v_fma_f64 v[5:6], -v[1:2], v[3:4], 1.0
	s_delay_alu instid0(VALU_DEP_1) | instskip(NEXT) | instid1(VALU_DEP_1)
	v_fma_f64 v[3:4], v[3:4], v[5:6], v[3:4]
	v_fma_f64 v[5:6], -v[1:2], v[3:4], 1.0
	s_delay_alu instid0(VALU_DEP_1) | instskip(SKIP_1) | instid1(VALU_DEP_1)
	v_fma_f64 v[3:4], v[3:4], v[5:6], v[3:4]
	v_div_scale_f64 v[5:6], vcc_lo, v[47:48], v[51:52], v[47:48]
	v_mul_f64 v[7:8], v[5:6], v[3:4]
	s_delay_alu instid0(VALU_DEP_1) | instskip(NEXT) | instid1(VALU_DEP_1)
	v_fma_f64 v[1:2], -v[1:2], v[7:8], v[5:6]
	v_div_fmas_f64 v[1:2], v[1:2], v[3:4], v[7:8]
	s_delay_alu instid0(VALU_DEP_1)
	v_div_fixup_f64 v[57:58], v[1:2], v[51:52], v[47:48]
	s_branch .LBB1_9
.LBB1_8:                                ;   in Loop: Header=BB1_9 Depth=1
	v_cmp_le_i64_e32 vcc_lo, s[6:7], v[59:60]
	v_cmp_lt_u64_e64 s4, 0xffff, v[59:60]
	s_clause 0x1
	global_store_b128 v[65:66], v[27:30], off
	global_store_b128 v[65:66], v[41:44], off offset:16
	s_clause 0x1
	global_store_b128 v[61:62], v[31:34], off
	global_store_b128 v[61:62], v[21:24], off offset:16
	;; [unrolled: 3-line block ×3, first 2 shown]
	s_or_b32 s4, vcc_lo, s4
	s_add_u32 s31, s31, s45
	s_addc_u32 s33, s33, 0
	s_add_u32 s41, s41, s45
	s_addc_u32 s42, s42, 0
	;; [unrolled: 2-line block ×3, first 2 shown]
	s_add_u32 s39, s39, s45
	v_add_co_u32 v59, vcc_lo, v59, s44
	s_addc_u32 s40, s40, 0
	s_add_u32 s36, s36, s45
	v_add_co_ci_u32_e32 v60, vcc_lo, 0, v60, vcc_lo
	s_addc_u32 s37, s37, 0
	s_and_b32 s4, exec_lo, s4
	s_delay_alu instid0(SALU_CYCLE_1) | instskip(NEXT) | instid1(SALU_CYCLE_1)
	s_or_b32 s43, s4, s43
	s_and_not1_b32 exec_lo, exec_lo, s43
	s_cbranch_execz .LBB1_19
.LBB1_9:                                ; =>This Inner Loop Header: Depth=1
	v_add_co_u32 v69, s4, s31, v71
	s_delay_alu instid0(VALU_DEP_1) | instskip(SKIP_1) | instid1(VALU_DEP_1)
	v_add_co_ci_u32_e64 v70, null, s33, 0, s4
	v_add_co_u32 v67, s4, s35, v71
	v_add_co_ci_u32_e64 v68, null, s38, 0, s4
	v_add_co_u32 v65, s4, s36, v71
	s_delay_alu instid0(VALU_DEP_1) | instskip(SKIP_1) | instid1(VALU_DEP_1)
	v_add_co_ci_u32_e64 v66, null, s37, 0, s4
	v_add_co_u32 v61, s4, s39, v71
	v_add_co_ci_u32_e64 v62, null, s40, 0, s4
	v_add_co_u32 v63, s4, s41, v71
	s_delay_alu instid0(VALU_DEP_1)
	v_add_co_ci_u32_e64 v64, null, s42, 0, s4
	s_clause 0x1
	global_load_b128 v[9:12], v[69:70], off offset:16
	global_load_b128 v[13:16], v[69:70], off
	s_clause 0x1
	global_load_b128 v[1:4], v[67:68], off offset:16
	global_load_b128 v[5:8], v[67:68], off
	;; [unrolled: 3-line block ×5, first 2 shown]
	s_and_not1_b32 vcc_lo, exec_lo, s34
	s_cbranch_vccnz .LBB1_11
; %bb.10:                               ;   in Loop: Header=BB1_9 Depth=1
	global_load_b32 v21, v54, s[12:13]
	s_waitcnt vmcnt(0)
	v_cvt_f64_f32_e32 v[21:22], v21
	s_delay_alu instid0(VALU_DEP_1) | instskip(NEXT) | instid1(VALU_DEP_1)
	v_div_scale_f64 v[35:36], null, v[21:22], v[21:22], v[5:6]
	v_rcp_f64_e32 v[41:42], v[35:36]
	s_waitcnt_depctr 0xfff
	v_fma_f64 v[72:73], -v[35:36], v[41:42], 1.0
	s_delay_alu instid0(VALU_DEP_1) | instskip(NEXT) | instid1(VALU_DEP_1)
	v_fma_f64 v[41:42], v[41:42], v[72:73], v[41:42]
	v_fma_f64 v[72:73], -v[35:36], v[41:42], 1.0
	s_delay_alu instid0(VALU_DEP_1) | instskip(SKIP_1) | instid1(VALU_DEP_1)
	v_fma_f64 v[41:42], v[41:42], v[72:73], v[41:42]
	v_div_scale_f64 v[72:73], vcc_lo, v[5:6], v[21:22], v[5:6]
	v_mul_f64 v[74:75], v[72:73], v[41:42]
	s_delay_alu instid0(VALU_DEP_1) | instskip(NEXT) | instid1(VALU_DEP_1)
	v_fma_f64 v[35:36], -v[35:36], v[74:75], v[72:73]
	v_div_fmas_f64 v[35:36], v[35:36], v[41:42], v[74:75]
	s_delay_alu instid0(VALU_DEP_1)
	v_div_fixup_f64 v[5:6], v[35:36], v[21:22], v[5:6]
.LBB1_11:                               ;   in Loop: Header=BB1_9 Depth=1
	s_and_not1_b32 vcc_lo, exec_lo, s34
	s_cbranch_vccnz .LBB1_13
; %bb.12:                               ;   in Loop: Header=BB1_9 Depth=1
	global_load_b32 v21, v54, s[12:13]
	s_waitcnt vmcnt(0)
	v_cvt_f64_f32_e32 v[21:22], v21
	s_delay_alu instid0(VALU_DEP_1) | instskip(NEXT) | instid1(VALU_DEP_1)
	v_div_scale_f64 v[35:36], null, v[21:22], v[21:22], v[7:8]
	v_rcp_f64_e32 v[41:42], v[35:36]
	s_waitcnt_depctr 0xfff
	v_fma_f64 v[72:73], -v[35:36], v[41:42], 1.0
	s_delay_alu instid0(VALU_DEP_1) | instskip(NEXT) | instid1(VALU_DEP_1)
	v_fma_f64 v[41:42], v[41:42], v[72:73], v[41:42]
	v_fma_f64 v[72:73], -v[35:36], v[41:42], 1.0
	s_delay_alu instid0(VALU_DEP_1) | instskip(SKIP_1) | instid1(VALU_DEP_1)
	v_fma_f64 v[41:42], v[41:42], v[72:73], v[41:42]
	v_div_scale_f64 v[72:73], vcc_lo, v[7:8], v[21:22], v[7:8]
	v_mul_f64 v[74:75], v[72:73], v[41:42]
	s_delay_alu instid0(VALU_DEP_1) | instskip(NEXT) | instid1(VALU_DEP_1)
	v_fma_f64 v[35:36], -v[35:36], v[74:75], v[72:73]
	v_div_fmas_f64 v[35:36], v[35:36], v[41:42], v[74:75]
	s_delay_alu instid0(VALU_DEP_1)
	v_div_fixup_f64 v[7:8], v[35:36], v[21:22], v[7:8]
.LBB1_13:                               ;   in Loop: Header=BB1_9 Depth=1
	;; [unrolled: 24-line block ×4, first 2 shown]
	s_waitcnt vmcnt(7)
	s_delay_alu instid0(VALU_DEP_1) | instskip(NEXT) | instid1(VALU_DEP_2)
	v_xor_b32_e32 v21, 0x80000000, v2
	v_cndmask_b32_e64 v35, v1, v1, s2
	s_waitcnt vmcnt(1)
	v_max_f64 v[37:38], v[37:38], v[37:38]
	s_delay_alu instid0(VALU_DEP_4) | instskip(SKIP_4) | instid1(VALU_DEP_2)
	v_xor_b32_e32 v53, 0x80000000, v8
	s_waitcnt vmcnt(0)
	v_max_f64 v[45:46], v[45:46], v[45:46]
	v_cndmask_b32_e64 v36, v2, v21, s2
	v_max_f64 v[39:40], v[39:40], v[39:40]
	v_mul_f64 v[21:22], v[35:36], v[35:36]
	v_fma_f64 v[35:36], -s[8:9], v[35:36], v[35:36]
	s_delay_alu instid0(VALU_DEP_2) | instskip(NEXT) | instid1(VALU_DEP_1)
	v_fma_f64 v[21:22], -s[10:11], v[21:22], v[21:22]
	v_fma_f64 v[21:22], s[10:11], v[17:18], v[21:22]
	s_delay_alu instid0(VALU_DEP_1) | instskip(NEXT) | instid1(VALU_DEP_1)
	v_max_f64 v[17:18], v[37:38], v[21:22]
	v_cmp_gt_f64_e32 vcc_lo, 0x10000000, v[17:18]
	v_cndmask_b32_e64 v37, 0, 1, vcc_lo
	s_delay_alu instid0(VALU_DEP_1) | instskip(NEXT) | instid1(VALU_DEP_1)
	v_lshlrev_b32_e32 v37, 8, v37
	v_ldexp_f64 v[41:42], v[17:18], v37
	s_delay_alu instid0(VALU_DEP_1) | instskip(SKIP_3) | instid1(VALU_DEP_1)
	v_rsq_f64_e32 v[37:38], v[41:42]
	s_waitcnt_depctr 0xfff
	v_mul_f64 v[72:73], v[41:42], v[37:38]
	v_mul_f64 v[37:38], v[37:38], 0.5
	v_fma_f64 v[74:75], -v[37:38], v[72:73], 0.5
	s_delay_alu instid0(VALU_DEP_1) | instskip(SKIP_1) | instid1(VALU_DEP_2)
	v_fma_f64 v[72:73], v[72:73], v[74:75], v[72:73]
	v_fma_f64 v[37:38], v[37:38], v[74:75], v[37:38]
	v_fma_f64 v[74:75], -v[72:73], v[72:73], v[41:42]
	s_delay_alu instid0(VALU_DEP_1) | instskip(SKIP_4) | instid1(VALU_DEP_3)
	v_fma_f64 v[72:73], v[74:75], v[37:38], v[72:73]
	v_cndmask_b32_e64 v74, v7, v7, s2
	v_cndmask_b32_e64 v75, v8, v53, s2
	v_cndmask_b32_e64 v53, 0, 0xffffff80, vcc_lo
	v_cmp_class_f64_e64 vcc_lo, v[41:42], 0x260
	v_mul_f64 v[76:77], v[74:75], v[74:75]
	v_fma_f64 v[74:75], -s[8:9], v[74:75], v[74:75]
	v_fma_f64 v[78:79], -v[72:73], v[72:73], v[41:42]
	s_delay_alu instid0(VALU_DEP_3) | instskip(NEXT) | instid1(VALU_DEP_3)
	v_fma_f64 v[76:77], -s[10:11], v[76:77], v[76:77]
	v_fma_f64 v[29:30], s[8:9], v[29:30], v[74:75]
	s_delay_alu instid0(VALU_DEP_3) | instskip(NEXT) | instid1(VALU_DEP_3)
	v_fma_f64 v[37:38], v[78:79], v[37:38], v[72:73]
	v_fma_f64 v[33:34], s[10:11], v[33:34], v[76:77]
	s_delay_alu instid0(VALU_DEP_3) | instskip(NEXT) | instid1(VALU_DEP_3)
	v_mul_f64 v[74:75], v[57:58], v[29:30]
	v_ldexp_f64 v[72:73], v[37:38], v53
	s_delay_alu instid0(VALU_DEP_3) | instskip(NEXT) | instid1(VALU_DEP_2)
	v_max_f64 v[37:38], v[45:46], v[33:34]
	v_dual_cndmask_b32 v46, v73, v42 :: v_dual_cndmask_b32 v45, v72, v41
	s_delay_alu instid0(VALU_DEP_1) | instskip(NEXT) | instid1(VALU_DEP_3)
	v_div_scale_f64 v[41:42], null, v[49:50], v[49:50], v[45:46]
	v_cmp_gt_f64_e64 s4, 0x10000000, v[37:38]
	v_div_scale_f64 v[86:87], vcc_lo, v[45:46], v[49:50], v[45:46]
	s_delay_alu instid0(VALU_DEP_3) | instskip(NEXT) | instid1(VALU_DEP_2)
	v_rcp_f64_e32 v[76:77], v[41:42]
	v_cndmask_b32_e64 v53, 0, 1, s4
	s_delay_alu instid0(VALU_DEP_1) | instskip(NEXT) | instid1(VALU_DEP_1)
	v_lshlrev_b32_e32 v53, 8, v53
	v_ldexp_f64 v[72:73], v[37:38], v53
	v_xor_b32_e32 v53, 0x80000000, v6
	s_waitcnt_depctr 0xfff
	v_fma_f64 v[80:81], -v[41:42], v[76:77], 1.0
	v_rsq_f64_e32 v[78:79], v[72:73]
	s_delay_alu instid0(VALU_DEP_1) | instskip(SKIP_4) | instid1(VALU_DEP_2)
	v_fma_f64 v[76:77], v[76:77], v[80:81], v[76:77]
	s_waitcnt_depctr 0xfff
	v_mul_f64 v[82:83], v[72:73], v[78:79]
	v_mul_f64 v[78:79], v[78:79], 0.5
	v_fma_f64 v[84:85], -v[41:42], v[76:77], 1.0
	v_fma_f64 v[80:81], -v[78:79], v[82:83], 0.5
	s_delay_alu instid0(VALU_DEP_2) | instskip(NEXT) | instid1(VALU_DEP_2)
	v_fma_f64 v[76:77], v[76:77], v[84:85], v[76:77]
	v_fma_f64 v[82:83], v[82:83], v[80:81], v[82:83]
	;; [unrolled: 1-line block ×3, first 2 shown]
	s_delay_alu instid0(VALU_DEP_3) | instskip(NEXT) | instid1(VALU_DEP_3)
	v_mul_f64 v[84:85], v[86:87], v[76:77]
	v_fma_f64 v[80:81], -v[82:83], v[82:83], v[72:73]
	s_delay_alu instid0(VALU_DEP_2) | instskip(NEXT) | instid1(VALU_DEP_2)
	v_fma_f64 v[41:42], -v[41:42], v[84:85], v[86:87]
	v_fma_f64 v[80:81], v[80:81], v[78:79], v[82:83]
	v_cndmask_b32_e64 v82, v5, v5, s2
	v_cndmask_b32_e64 v83, v6, v53, s2
	s_delay_alu instid0(VALU_DEP_1)
	v_mul_f64 v[86:87], v[82:83], v[82:83]
	v_fma_f64 v[82:83], -s[8:9], v[82:83], v[82:83]
	v_div_fmas_f64 v[76:77], v[41:42], v[76:77], v[84:85]
	v_fma_f64 v[41:42], s[8:9], v[23:24], v[35:36]
	v_max_f64 v[35:36], v[43:44], v[43:44]
	v_cndmask_b32_e64 v43, 0, 0xffffff80, s4
	v_cmp_class_f64_e64 vcc_lo, v[72:73], 0x260
	v_fma_f64 v[88:89], -v[80:81], v[80:81], v[72:73]
	v_fma_f64 v[84:85], -s[10:11], v[86:87], v[86:87]
	v_fma_f64 v[27:28], s[8:9], v[27:28], v[82:83]
	v_div_fixup_f64 v[23:24], v[76:77], v[49:50], v[45:46]
	v_mul_f64 v[45:46], v[57:58], v[41:42]
	v_fma_f64 v[78:79], v[88:89], v[78:79], v[80:81]
	v_fma_f64 v[31:32], s[10:11], v[31:32], v[84:85]
	s_delay_alu instid0(VALU_DEP_4) | instskip(NEXT) | instid1(VALU_DEP_3)
	v_add_f64 v[76:77], v[23:24], s[18:19]
	v_ldexp_f64 v[43:44], v[78:79], v43
	s_delay_alu instid0(VALU_DEP_3) | instskip(NEXT) | instid1(VALU_DEP_2)
	v_max_f64 v[35:36], v[35:36], v[31:32]
	v_dual_cndmask_b32 v24, v44, v73 :: v_dual_cndmask_b32 v23, v43, v72
	s_delay_alu instid0(VALU_DEP_4) | instskip(SKIP_1) | instid1(VALU_DEP_3)
	v_div_scale_f64 v[43:44], null, v[76:77], v[76:77], v[45:46]
	v_div_scale_f64 v[96:97], vcc_lo, v[45:46], v[76:77], v[45:46]
	v_div_scale_f64 v[72:73], null, v[49:50], v[49:50], v[23:24]
	v_cmp_gt_f64_e64 s4, 0x10000000, v[35:36]
	s_delay_alu instid0(VALU_DEP_4) | instskip(NEXT) | instid1(VALU_DEP_2)
	v_rcp_f64_e32 v[80:81], v[43:44]
	v_rcp_f64_e32 v[84:85], v[72:73]
	s_delay_alu instid0(VALU_DEP_1) | instskip(NEXT) | instid1(VALU_DEP_1)
	v_cndmask_b32_e64 v53, 0, 1, s4
	v_lshlrev_b32_e32 v53, 8, v53
	s_delay_alu instid0(VALU_DEP_1)
	v_ldexp_f64 v[78:79], v[35:36], v53
	v_xor_b32_e32 v53, 0x80000000, v4
	s_waitcnt_depctr 0xfff
	v_fma_f64 v[88:89], -v[43:44], v[80:81], 1.0
	v_fma_f64 v[90:91], -v[72:73], v[84:85], 1.0
	v_rsq_f64_e32 v[86:87], v[78:79]
	s_delay_alu instid0(VALU_DEP_2) | instskip(NEXT) | instid1(VALU_DEP_2)
	v_fma_f64 v[80:81], v[80:81], v[88:89], v[80:81]
	v_fma_f64 v[84:85], v[84:85], v[90:91], v[84:85]
	s_waitcnt_depctr 0xfff
	v_mul_f64 v[92:93], v[78:79], v[86:87]
	v_mul_f64 v[86:87], v[86:87], 0.5
	v_fma_f64 v[90:91], -v[43:44], v[80:81], 1.0
	v_fma_f64 v[94:95], -v[72:73], v[84:85], 1.0
	s_delay_alu instid0(VALU_DEP_3) | instskip(NEXT) | instid1(VALU_DEP_3)
	v_fma_f64 v[88:89], -v[86:87], v[92:93], 0.5
	v_fma_f64 v[80:81], v[80:81], v[90:91], v[80:81]
	v_div_scale_f64 v[90:91], s5, v[23:24], v[49:50], v[23:24]
	s_delay_alu instid0(VALU_DEP_4) | instskip(NEXT) | instid1(VALU_DEP_4)
	v_fma_f64 v[84:85], v[84:85], v[94:95], v[84:85]
	v_fma_f64 v[92:93], v[92:93], v[88:89], v[92:93]
	;; [unrolled: 1-line block ×3, first 2 shown]
	v_mul_f64 v[94:95], v[96:97], v[80:81]
	s_delay_alu instid0(VALU_DEP_4) | instskip(NEXT) | instid1(VALU_DEP_4)
	v_mul_f64 v[98:99], v[90:91], v[84:85]
	v_fma_f64 v[88:89], -v[92:93], v[92:93], v[78:79]
	s_delay_alu instid0(VALU_DEP_3) | instskip(NEXT) | instid1(VALU_DEP_3)
	v_fma_f64 v[43:44], -v[43:44], v[94:95], v[96:97]
	v_fma_f64 v[72:73], -v[72:73], v[98:99], v[90:91]
	v_cndmask_b32_e64 v90, v3, v3, s2
	v_cndmask_b32_e64 v91, v4, v53, s2
	v_fma_f64 v[88:89], v[88:89], v[86:87], v[92:93]
	s_delay_alu instid0(VALU_DEP_2)
	v_mul_f64 v[92:93], v[90:91], v[90:91]
	v_fma_f64 v[90:91], -s[8:9], v[90:91], v[90:91]
	v_div_fmas_f64 v[80:81], v[43:44], v[80:81], v[94:95]
	s_mov_b32 vcc_lo, s5
	v_div_fmas_f64 v[43:44], v[72:73], v[84:85], v[98:99]
	v_cmp_class_f64_e64 vcc_lo, v[78:79], 0x260
	v_fma_f64 v[96:97], -v[88:89], v[88:89], v[78:79]
	v_fma_f64 v[72:73], -s[10:11], v[92:93], v[92:93]
	v_div_fixup_f64 v[45:46], v[80:81], v[76:77], v[45:46]
	v_div_fixup_f64 v[43:44], v[43:44], v[49:50], v[23:24]
	s_delay_alu instid0(VALU_DEP_4) | instskip(NEXT) | instid1(VALU_DEP_4)
	v_fma_f64 v[84:85], v[96:97], v[86:87], v[88:89]
	v_fma_f64 v[23:24], s[10:11], v[19:20], v[72:73]
	v_cndmask_b32_e64 v19, 0, 0xffffff80, s4
	s_delay_alu instid0(VALU_DEP_1) | instskip(NEXT) | instid1(VALU_DEP_3)
	v_ldexp_f64 v[72:73], v[84:85], v19
	v_max_f64 v[19:20], v[39:40], v[23:24]
	v_add_f64 v[84:85], v[43:44], s[18:19]
	s_delay_alu instid0(VALU_DEP_3) | instskip(NEXT) | instid1(VALU_DEP_3)
	v_cndmask_b32_e32 v40, v73, v79, vcc_lo
	v_cmp_gt_f64_e64 s4, 0x10000000, v[19:20]
	v_cndmask_b32_e32 v39, v72, v78, vcc_lo
	s_delay_alu instid0(VALU_DEP_4) | instskip(SKIP_1) | instid1(VALU_DEP_3)
	v_div_scale_f64 v[43:44], null, v[84:85], v[84:85], v[74:75]
	v_div_scale_f64 v[102:103], vcc_lo, v[74:75], v[84:85], v[74:75]
	v_div_scale_f64 v[72:73], null, v[49:50], v[49:50], v[39:40]
	v_cndmask_b32_e64 v53, 0, 1, s4
	s_delay_alu instid0(VALU_DEP_4) | instskip(NEXT) | instid1(VALU_DEP_1)
	v_rcp_f64_e32 v[86:87], v[43:44]
	v_lshlrev_b32_e32 v53, 8, v53
	s_delay_alu instid0(VALU_DEP_3) | instskip(NEXT) | instid1(VALU_DEP_1)
	v_rcp_f64_e32 v[88:89], v[72:73]
	v_ldexp_f64 v[78:79], v[19:20], v53
	s_waitcnt_depctr 0xfff
	v_fma_f64 v[94:95], -v[43:44], v[86:87], 1.0
	v_fma_f64 v[96:97], -v[72:73], v[88:89], 1.0
	v_rsq_f64_e32 v[92:93], v[78:79]
	s_delay_alu instid0(VALU_DEP_2) | instskip(NEXT) | instid1(VALU_DEP_2)
	v_fma_f64 v[86:87], v[86:87], v[94:95], v[86:87]
	v_fma_f64 v[88:89], v[88:89], v[96:97], v[88:89]
	s_waitcnt_depctr 0xfff
	v_mul_f64 v[98:99], v[78:79], v[92:93]
	v_mul_f64 v[92:93], v[92:93], 0.5
	v_fma_f64 v[96:97], -v[43:44], v[86:87], 1.0
	v_fma_f64 v[100:101], -v[72:73], v[88:89], 1.0
	s_delay_alu instid0(VALU_DEP_3) | instskip(NEXT) | instid1(VALU_DEP_3)
	v_fma_f64 v[94:95], -v[92:93], v[98:99], 0.5
	v_fma_f64 v[86:87], v[86:87], v[96:97], v[86:87]
	v_div_scale_f64 v[96:97], s5, v[39:40], v[49:50], v[39:40]
	s_delay_alu instid0(VALU_DEP_4) | instskip(NEXT) | instid1(VALU_DEP_4)
	v_fma_f64 v[88:89], v[88:89], v[100:101], v[88:89]
	v_fma_f64 v[98:99], v[98:99], v[94:95], v[98:99]
	v_fma_f64 v[92:93], v[92:93], v[94:95], v[92:93]
	v_mul_f64 v[100:101], v[102:103], v[86:87]
	s_delay_alu instid0(VALU_DEP_4) | instskip(NEXT) | instid1(VALU_DEP_4)
	v_mul_f64 v[104:105], v[96:97], v[88:89]
	v_fma_f64 v[94:95], -v[98:99], v[98:99], v[78:79]
	s_delay_alu instid0(VALU_DEP_3) | instskip(NEXT) | instid1(VALU_DEP_3)
	v_fma_f64 v[43:44], -v[43:44], v[100:101], v[102:103]
	v_fma_f64 v[72:73], -v[72:73], v[104:105], v[96:97]
	s_delay_alu instid0(VALU_DEP_3) | instskip(NEXT) | instid1(VALU_DEP_3)
	v_fma_f64 v[94:95], v[94:95], v[92:93], v[98:99]
	v_div_fmas_f64 v[86:87], v[43:44], v[86:87], v[100:101]
	s_mov_b32 vcc_lo, s5
	s_delay_alu instid0(VALU_DEP_3) | instskip(SKIP_1) | instid1(VALU_DEP_4)
	v_div_fmas_f64 v[43:44], v[72:73], v[88:89], v[104:105]
	v_cmp_class_f64_e64 vcc_lo, v[78:79], 0x260
	v_fma_f64 v[96:97], -v[94:95], v[94:95], v[78:79]
	s_delay_alu instid0(VALU_DEP_4) | instskip(NEXT) | instid1(VALU_DEP_4)
	v_div_fixup_f64 v[74:75], v[86:87], v[84:85], v[74:75]
	v_div_fixup_f64 v[39:40], v[43:44], v[49:50], v[39:40]
	v_cndmask_b32_e64 v43, 0, 0xffffff80, s4
	s_delay_alu instid0(VALU_DEP_4) | instskip(NEXT) | instid1(VALU_DEP_3)
	v_fma_f64 v[72:73], v[96:97], v[92:93], v[94:95]
	v_add_f64 v[39:40], v[39:40], s[18:19]
	s_delay_alu instid0(VALU_DEP_2) | instskip(SKIP_1) | instid1(VALU_DEP_2)
	v_ldexp_f64 v[43:44], v[72:73], v43
	v_mul_f64 v[72:73], v[57:58], v[27:28]
	v_dual_cndmask_b32 v79, v44, v79 :: v_dual_cndmask_b32 v78, v43, v78
	s_delay_alu instid0(VALU_DEP_2) | instskip(SKIP_1) | instid1(VALU_DEP_3)
	v_div_scale_f64 v[43:44], null, v[39:40], v[39:40], v[72:73]
	v_div_scale_f64 v[98:99], vcc_lo, v[72:73], v[39:40], v[72:73]
	v_div_scale_f64 v[82:83], null, v[49:50], v[49:50], v[78:79]
	s_delay_alu instid0(VALU_DEP_3) | instskip(NEXT) | instid1(VALU_DEP_1)
	v_rcp_f64_e32 v[88:89], v[43:44]
	v_rcp_f64_e32 v[92:93], v[82:83]
	s_waitcnt_depctr 0xfff
	v_fma_f64 v[94:95], -v[43:44], v[88:89], 1.0
	v_fma_f64 v[96:97], -v[82:83], v[92:93], 1.0
	s_delay_alu instid0(VALU_DEP_2) | instskip(NEXT) | instid1(VALU_DEP_2)
	v_fma_f64 v[88:89], v[88:89], v[94:95], v[88:89]
	v_fma_f64 v[92:93], v[92:93], v[96:97], v[92:93]
	s_delay_alu instid0(VALU_DEP_2) | instskip(NEXT) | instid1(VALU_DEP_2)
	v_fma_f64 v[94:95], -v[43:44], v[88:89], 1.0
	v_fma_f64 v[96:97], -v[82:83], v[92:93], 1.0
	s_delay_alu instid0(VALU_DEP_2) | instskip(SKIP_1) | instid1(VALU_DEP_3)
	v_fma_f64 v[88:89], v[88:89], v[94:95], v[88:89]
	v_div_scale_f64 v[94:95], s4, v[78:79], v[49:50], v[78:79]
	v_fma_f64 v[92:93], v[92:93], v[96:97], v[92:93]
	s_delay_alu instid0(VALU_DEP_3) | instskip(NEXT) | instid1(VALU_DEP_2)
	v_mul_f64 v[96:97], v[98:99], v[88:89]
	v_mul_f64 v[100:101], v[94:95], v[92:93]
	s_delay_alu instid0(VALU_DEP_2) | instskip(NEXT) | instid1(VALU_DEP_2)
	v_fma_f64 v[43:44], -v[43:44], v[96:97], v[98:99]
	v_fma_f64 v[82:83], -v[82:83], v[100:101], v[94:95]
	s_delay_alu instid0(VALU_DEP_2) | instskip(SKIP_3) | instid1(VALU_DEP_4)
	v_div_fmas_f64 v[88:89], v[43:44], v[88:89], v[96:97]
	s_mov_b32 vcc_lo, s4
	v_fma_f64 v[43:44], s[8:9], v[25:26], v[90:91]
	v_fma_f64 v[96:97], -v[55:56], v[11:12], v[11:12]
	v_div_fmas_f64 v[82:83], v[82:83], v[92:93], v[100:101]
	s_delay_alu instid0(VALU_DEP_4) | instskip(NEXT) | instid1(VALU_DEP_3)
	v_div_fixup_f64 v[39:40], v[88:89], v[39:40], v[72:73]
	v_cndmask_b32_e64 v12, v12, v97, s3
	s_delay_alu instid0(VALU_DEP_3) | instskip(SKIP_2) | instid1(VALU_DEP_3)
	v_div_fixup_f64 v[25:26], v[82:83], v[49:50], v[78:79]
	v_mul_f64 v[78:79], v[57:58], v[43:44]
	v_cndmask_b32_e64 v11, v11, v96, s3
	v_add_f64 v[25:26], v[25:26], s[18:19]
	s_delay_alu instid0(VALU_DEP_1) | instskip(NEXT) | instid1(VALU_DEP_1)
	v_div_scale_f64 v[82:83], null, v[25:26], v[25:26], v[78:79]
	v_rcp_f64_e32 v[90:91], v[82:83]
	s_waitcnt_depctr 0xfff
	v_fma_f64 v[92:93], -v[82:83], v[90:91], 1.0
	s_delay_alu instid0(VALU_DEP_1) | instskip(NEXT) | instid1(VALU_DEP_1)
	v_fma_f64 v[90:91], v[90:91], v[92:93], v[90:91]
	v_fma_f64 v[92:93], -v[82:83], v[90:91], 1.0
	s_delay_alu instid0(VALU_DEP_1) | instskip(SKIP_1) | instid1(VALU_DEP_1)
	v_fma_f64 v[90:91], v[90:91], v[92:93], v[90:91]
	v_div_scale_f64 v[92:93], vcc_lo, v[78:79], v[25:26], v[78:79]
	v_mul_f64 v[94:95], v[92:93], v[90:91]
	s_delay_alu instid0(VALU_DEP_1) | instskip(SKIP_1) | instid1(VALU_DEP_2)
	v_fma_f64 v[82:83], -v[82:83], v[94:95], v[92:93]
	v_fma_f64 v[92:93], -v[55:56], v[15:16], v[15:16]
	v_div_fmas_f64 v[82:83], v[82:83], v[90:91], v[94:95]
	v_fma_f64 v[94:95], -v[55:56], v[13:14], v[13:14]
	v_fma_f64 v[90:91], -v[55:56], v[9:10], v[9:10]
	s_delay_alu instid0(VALU_DEP_4) | instskip(SKIP_2) | instid1(VALU_DEP_1)
	v_cndmask_b32_e64 v16, v16, v93, s3
	v_cndmask_b32_e64 v15, v15, v92, s3
	s_and_not1_b32 vcc_lo, exec_lo, s34
	v_add_f64 v[15:16], v[15:16], -v[74:75]
	v_div_fixup_f64 v[25:26], v[82:83], v[25:26], v[78:79]
	v_cndmask_b32_e64 v14, v14, v95, s3
	v_cndmask_b32_e64 v13, v13, v94, s3
	;; [unrolled: 1-line block ×4, first 2 shown]
	s_delay_alu instid0(VALU_DEP_3) | instskip(NEXT) | instid1(VALU_DEP_2)
	v_add_f64 v[13:14], v[13:14], -v[39:40]
	v_add_f64 v[9:10], v[9:10], -v[45:46]
	;; [unrolled: 1-line block ×3, first 2 shown]
	s_clause 0x1
	global_store_b128 v[69:70], v[13:16], off
	global_store_b128 v[69:70], v[9:12], off offset:16
	s_cbranch_vccnz .LBB1_8
; %bb.18:                               ;   in Loop: Header=BB1_9 Depth=1
	s_clause 0x1
	global_store_b128 v[67:68], v[5:8], off
	global_store_b128 v[67:68], v[1:4], off offset:16
	s_branch .LBB1_8
.LBB1_19:
	s_or_b32 exec_lo, exec_lo, s30
	s_mov_b32 s3, 0
.LBB1_20:
	s_delay_alu instid0(SALU_CYCLE_1)
	s_and_not1_b32 vcc_lo, exec_lo, s3
	s_cbranch_vccnz .LBB1_98
; %bb.21:
	v_cmp_lt_i64_e64 s3, s[6:7], 1
	s_delay_alu instid0(VALU_DEP_1)
	s_and_b32 vcc_lo, exec_lo, s3
	s_cbranch_vccnz .LBB1_98
; %bb.22:
	v_div_scale_f64 v[1:2], null, v[51:52], v[51:52], v[47:48]
	v_div_scale_f64 v[7:8], vcc_lo, v[47:48], v[51:52], v[47:48]
	s_load_b32 s1, s[0:1], 0xd34
	v_dual_mov_b32 v10, 0 :: v_dual_lshlrev_b32 v9, 3, v0
	v_cmp_gt_u64_e64 s3, 0x10000, s[6:7]
	s_waitcnt lgkmcnt(0)
	v_cmp_neq_f64_e64 s0, s[16:17], 0
	s_delay_alu instid0(VALU_DEP_3) | instskip(NEXT) | instid1(VALU_DEP_1)
	v_add_co_u32 v45, s4, s20, v9
	v_add_co_ci_u32_e64 v46, null, s21, 0, s4
	v_add_co_u32 v53, s4, s22, v9
	s_delay_alu instid0(VALU_DEP_1) | instskip(SKIP_1) | instid1(VALU_DEP_1)
	v_add_co_ci_u32_e64 v54, null, s23, 0, s4
	v_add_co_u32 v55, s4, s24, v9
	v_add_co_ci_u32_e64 v56, null, s25, 0, s4
	v_add_co_u32 v57, s4, s26, v9
	s_and_b32 s1, s1, 0xffff
	v_add_co_ci_u32_e64 v58, null, s27, 0, s4
	v_mad_u64_u32 v[11:12], null, s1, 24, v[9:10]
	v_add_co_u32 v59, s4, s28, v9
	s_delay_alu instid0(VALU_DEP_1) | instskip(SKIP_2) | instid1(SALU_CYCLE_1)
	v_add_co_ci_u32_e64 v60, null, s29, 0, s4
	s_and_b32 s3, s3, exec_lo
	s_mul_i32 s4, s1, 3
	v_add_co_u32 v61, s4, s4, v0
	v_rcp_f64_e32 v[3:4], v[1:2]
	v_add_co_ci_u32_e64 v62, null, 0, 0, s4
	s_waitcnt_depctr 0xfff
	v_fma_f64 v[5:6], -v[1:2], v[3:4], 1.0
	s_delay_alu instid0(VALU_DEP_1) | instskip(NEXT) | instid1(VALU_DEP_1)
	v_fma_f64 v[3:4], v[3:4], v[5:6], v[3:4]
	v_fma_f64 v[5:6], -v[1:2], v[3:4], 1.0
	s_delay_alu instid0(VALU_DEP_1) | instskip(NEXT) | instid1(VALU_DEP_1)
	v_fma_f64 v[3:4], v[3:4], v[5:6], v[3:4]
	v_mul_f64 v[5:6], v[7:8], v[3:4]
	s_delay_alu instid0(VALU_DEP_1)
	v_fma_f64 v[7:8], -v[1:2], v[5:6], v[7:8]
	v_mul_f64 v[1:2], v[47:48], s[16:17]
	s_cselect_b32 s17, s7, 0
	s_cselect_b32 s16, s6, 0x10000
	s_lshl_b32 s3, s1, 1
	s_cmp_lg_u64 s[12:13], 0
	v_add_co_u32 v81, s3, s3, v0
	s_cselect_b32 s30, -1, 0
	s_lshl_b32 s4, s1, 4
	v_add_co_ci_u32_e64 v82, null, 0, 0, s3
	s_delay_alu instid0(VALU_DEP_4)
	v_div_fmas_f64 v[3:4], v[7:8], v[3:4], v[5:6]
	v_add_co_u32 v63, vcc_lo, s20, v11
	v_add_co_ci_u32_e32 v64, vcc_lo, s21, v12, vcc_lo
	v_add_co_u32 v65, vcc_lo, s22, v11
	v_add_co_ci_u32_e32 v66, vcc_lo, s23, v12, vcc_lo
	;; [unrolled: 2-line block ×3, first 2 shown]
	v_add_co_u32 v69, vcc_lo, s26, v11
	v_add_co_u32 v5, s4, s4, v9
	v_add_co_ci_u32_e32 v70, vcc_lo, s27, v12, vcc_lo
	v_add_co_ci_u32_e64 v6, null, 0, 0, s4
	v_add_co_u32 v71, vcc_lo, s28, v11
	v_add_co_ci_u32_e32 v72, vcc_lo, s29, v12, vcc_lo
	v_add_co_u32 v73, vcc_lo, s20, v5
	s_delay_alu instid0(VALU_DEP_4)
	v_add_co_ci_u32_e32 v74, vcc_lo, s21, v6, vcc_lo
	v_add_co_u32 v75, vcc_lo, s22, v5
	v_add_co_ci_u32_e32 v76, vcc_lo, s23, v6, vcc_lo
	v_add_co_u32 v77, vcc_lo, s24, v5
	v_add_co_ci_u32_e32 v78, vcc_lo, s25, v6, vcc_lo
	v_div_fixup_f64 v[3:4], v[3:4], v[51:52], v[47:48]
	v_add_co_u32 v51, s4, v0, s1
	v_add_co_u32 v47, vcc_lo, s26, v5
	v_add_co_ci_u32_e32 v48, vcc_lo, s27, v6, vcc_lo
	v_add_co_u32 v52, vcc_lo, s28, v5
	s_delay_alu instid0(VALU_DEP_4) | instskip(SKIP_2) | instid1(VALU_DEP_3)
	v_lshlrev_b32_e32 v5, 3, v51
	v_add_co_ci_u32_e32 v79, vcc_lo, s29, v6, vcc_lo
	v_add_co_ci_u32_e64 v80, null, 0, 0, s4
	v_add_co_u32 v83, s3, s20, v5
	s_delay_alu instid0(VALU_DEP_1) | instskip(SKIP_1) | instid1(VALU_DEP_1)
	v_add_co_ci_u32_e64 v84, null, s21, 0, s3
	v_add_co_u32 v85, s3, s22, v5
	v_add_co_ci_u32_e64 v86, null, s23, 0, s3
	v_add_co_u32 v87, s3, s24, v5
	s_delay_alu instid0(VALU_DEP_1) | instskip(SKIP_1) | instid1(VALU_DEP_1)
	v_add_co_ci_u32_e64 v88, null, s25, 0, s3
	v_add_co_u32 v89, s3, s26, v5
	v_add_co_ci_u32_e64 v90, null, s27, 0, s3
	v_add_co_u32 v91, s3, s28, v5
	s_delay_alu instid0(VALU_DEP_1)
	v_add_co_ci_u32_e64 v92, null, s29, 0, s3
	s_mov_b64 s[20:21], 0
	s_lshl_b32 s22, s1, 2
	s_lshl_b32 s23, s1, 5
	s_branch .LBB1_24
.LBB1_23:                               ;   in Loop: Header=BB1_24 Depth=1
	s_or_b32 exec_lo, exec_lo, s1
	v_add_co_u32 v45, vcc_lo, v45, s23
	v_add_co_ci_u32_e32 v46, vcc_lo, 0, v46, vcc_lo
	v_add_co_u32 v53, vcc_lo, v53, s23
	v_add_co_ci_u32_e32 v54, vcc_lo, 0, v54, vcc_lo
	;; [unrolled: 2-line block ×17, first 2 shown]
	s_add_u32 s20, s20, s22
	v_add_co_u32 v87, vcc_lo, v87, s23
	s_addc_u32 s21, s21, 0
	v_add_co_ci_u32_e32 v88, vcc_lo, 0, v88, vcc_lo
	v_cmp_ge_i64_e64 s1, s[20:21], s[6:7]
	v_cmp_lt_u64_e64 s3, 0xffff, s[20:21]
	v_add_co_u32 v89, vcc_lo, v89, s23
	v_add_co_ci_u32_e32 v90, vcc_lo, 0, v90, vcc_lo
	v_add_co_u32 v91, vcc_lo, v91, s23
	v_add_co_ci_u32_e32 v92, vcc_lo, 0, v92, vcc_lo
	s_or_b32 s1, s1, s3
	s_delay_alu instid0(SALU_CYCLE_1)
	s_and_b32 vcc_lo, exec_lo, s1
	s_cbranch_vccnz .LBB1_98
.LBB1_24:                               ; =>This Inner Loop Header: Depth=1
	v_add_co_u32 v5, s1, v0, s20
	s_delay_alu instid0(VALU_DEP_1) | instskip(SKIP_2) | instid1(VALU_DEP_3)
	v_add_co_ci_u32_e64 v6, null, 0, s21, s1
	v_mov_b32_e32 v15, 0
	v_mov_b32_e32 v16, 0
	v_cmp_gt_u64_e64 s1, s[16:17], v[5:6]
	s_delay_alu instid0(VALU_DEP_2) | instskip(SKIP_1) | instid1(VALU_DEP_3)
	v_dual_mov_b32 v5, v15 :: v_dual_mov_b32 v6, v16
	v_dual_mov_b32 v24, v16 :: v_dual_mov_b32 v23, v15
	s_and_saveexec_b32 s3, s1
	s_cbranch_execz .LBB1_26
; %bb.25:                               ;   in Loop: Header=BB1_24 Depth=1
	v_add_co_u32 v5, vcc_lo, v45, s14
	v_add_co_ci_u32_e32 v6, vcc_lo, s15, v46, vcc_lo
	v_add_co_u32 v7, vcc_lo, v53, s14
	v_add_co_ci_u32_e32 v8, vcc_lo, s15, v54, vcc_lo
	global_load_b64 v[23:24], v[5:6], off
	global_load_b64 v[5:6], v[7:8], off
.LBB1_26:                               ;   in Loop: Header=BB1_24 Depth=1
	s_or_b32 exec_lo, exec_lo, s3
	v_dual_mov_b32 v22, v16 :: v_dual_mov_b32 v21, v15
	s_and_saveexec_b32 s3, s1
	s_cbranch_execz .LBB1_28
; %bb.27:                               ;   in Loop: Header=BB1_24 Depth=1
	v_add_co_u32 v7, vcc_lo, v55, s14
	v_add_co_ci_u32_e32 v8, vcc_lo, s15, v56, vcc_lo
	v_add_co_u32 v9, vcc_lo, v57, s14
	v_add_co_ci_u32_e32 v10, vcc_lo, s15, v58, vcc_lo
	global_load_b64 v[15:16], v[7:8], off
	global_load_b64 v[21:22], v[9:10], off
.LBB1_28:                               ;   in Loop: Header=BB1_24 Depth=1
	s_or_b32 exec_lo, exec_lo, s3
	v_mov_b32_e32 v17, 0
	v_mov_b32_e32 v18, 0
	s_delay_alu instid0(VALU_DEP_1)
	v_dual_mov_b32 v30, v18 :: v_dual_mov_b32 v29, v17
	s_and_saveexec_b32 s3, s1
	s_cbranch_execz .LBB1_30
; %bb.29:                               ;   in Loop: Header=BB1_24 Depth=1
	v_add_co_u32 v7, vcc_lo, v59, s14
	v_add_co_ci_u32_e32 v8, vcc_lo, s15, v60, vcc_lo
	global_load_b64 v[29:30], v[7:8], off
.LBB1_30:                               ;   in Loop: Header=BB1_24 Depth=1
	s_or_b32 exec_lo, exec_lo, s3
	v_add_co_u32 v7, vcc_lo, v51, s20
	v_add_co_ci_u32_e32 v8, vcc_lo, s21, v80, vcc_lo
	s_delay_alu instid0(VALU_DEP_1) | instskip(SKIP_1) | instid1(VALU_DEP_2)
	v_cmp_gt_u64_e64 s3, s[16:17], v[7:8]
	v_dual_mov_b32 v7, v17 :: v_dual_mov_b32 v8, v18
	s_and_saveexec_b32 s4, s3
	s_cbranch_execz .LBB1_32
; %bb.31:                               ;   in Loop: Header=BB1_24 Depth=1
	v_add_co_u32 v7, vcc_lo, v83, s14
	v_add_co_ci_u32_e32 v8, vcc_lo, s15, v84, vcc_lo
	v_add_co_u32 v9, vcc_lo, v85, s14
	v_add_co_ci_u32_e32 v10, vcc_lo, s15, v86, vcc_lo
	global_load_b64 v[17:18], v[7:8], off
	global_load_b64 v[7:8], v[9:10], off
.LBB1_32:                               ;   in Loop: Header=BB1_24 Depth=1
	s_or_b32 exec_lo, exec_lo, s4
	v_mov_b32_e32 v37, 0
	v_mov_b32_e32 v38, 0
	s_delay_alu instid0(VALU_DEP_1)
	v_dual_mov_b32 v42, v38 :: v_dual_mov_b32 v41, v37
	v_dual_mov_b32 v40, v38 :: v_dual_mov_b32 v39, v37
	s_and_saveexec_b32 s4, s3
	s_cbranch_execz .LBB1_34
; %bb.33:                               ;   in Loop: Header=BB1_24 Depth=1
	v_add_co_u32 v9, vcc_lo, v87, s14
	v_add_co_ci_u32_e32 v10, vcc_lo, s15, v88, vcc_lo
	v_add_co_u32 v11, vcc_lo, v89, s14
	v_add_co_ci_u32_e32 v12, vcc_lo, s15, v90, vcc_lo
	global_load_b64 v[41:42], v[9:10], off
	global_load_b64 v[39:40], v[11:12], off
.LBB1_34:                               ;   in Loop: Header=BB1_24 Depth=1
	s_or_b32 exec_lo, exec_lo, s4
	s_and_saveexec_b32 s4, s3
	s_cbranch_execz .LBB1_36
; %bb.35:                               ;   in Loop: Header=BB1_24 Depth=1
	v_add_co_u32 v9, vcc_lo, v91, s14
	v_add_co_ci_u32_e32 v10, vcc_lo, s15, v92, vcc_lo
	global_load_b64 v[37:38], v[9:10], off
.LBB1_36:                               ;   in Loop: Header=BB1_24 Depth=1
	s_or_b32 exec_lo, exec_lo, s4
	v_add_co_u32 v9, vcc_lo, v81, s20
	v_add_co_ci_u32_e32 v10, vcc_lo, s21, v82, vcc_lo
	v_mov_b32_e32 v25, 0
	v_mov_b32_e32 v26, 0
	s_delay_alu instid0(VALU_DEP_2) | instskip(NEXT) | instid1(VALU_DEP_4)
	v_mov_b32_e32 v19, v25
	v_cmp_gt_u64_e64 s4, s[16:17], v[9:10]
	s_delay_alu instid0(VALU_DEP_3) | instskip(SKIP_1) | instid1(VALU_DEP_3)
	v_dual_mov_b32 v9, v25 :: v_dual_mov_b32 v10, v26
	v_mov_b32_e32 v20, v26
	s_and_saveexec_b32 s5, s4
	s_cbranch_execz .LBB1_38
; %bb.37:                               ;   in Loop: Header=BB1_24 Depth=1
	v_add_co_u32 v9, vcc_lo, v73, s14
	v_add_co_ci_u32_e32 v10, vcc_lo, s15, v74, vcc_lo
	v_add_co_u32 v11, vcc_lo, v75, s14
	v_add_co_ci_u32_e32 v12, vcc_lo, s15, v76, vcc_lo
	global_load_b64 v[19:20], v[9:10], off
	global_load_b64 v[9:10], v[11:12], off
.LBB1_38:                               ;   in Loop: Header=BB1_24 Depth=1
	s_or_b32 exec_lo, exec_lo, s5
	v_dual_mov_b32 v36, v26 :: v_dual_mov_b32 v35, v25
	s_and_saveexec_b32 s5, s4
	s_cbranch_execz .LBB1_40
; %bb.39:                               ;   in Loop: Header=BB1_24 Depth=1
	v_add_co_u32 v11, vcc_lo, v77, s14
	v_add_co_ci_u32_e32 v12, vcc_lo, s15, v78, vcc_lo
	v_add_co_u32 v13, vcc_lo, v47, s14
	v_add_co_ci_u32_e32 v14, vcc_lo, s15, v48, vcc_lo
	global_load_b64 v[25:26], v[11:12], off
	global_load_b64 v[35:36], v[13:14], off
.LBB1_40:                               ;   in Loop: Header=BB1_24 Depth=1
	s_or_b32 exec_lo, exec_lo, s5
	v_mov_b32_e32 v13, 0
	v_mov_b32_e32 v14, 0
	s_delay_alu instid0(VALU_DEP_1)
	v_dual_mov_b32 v44, v14 :: v_dual_mov_b32 v43, v13
	s_and_saveexec_b32 s5, s4
	s_cbranch_execz .LBB1_42
; %bb.41:                               ;   in Loop: Header=BB1_24 Depth=1
	v_add_co_u32 v11, vcc_lo, v52, s14
	v_add_co_ci_u32_e32 v12, vcc_lo, s15, v79, vcc_lo
	global_load_b64 v[43:44], v[11:12], off
.LBB1_42:                               ;   in Loop: Header=BB1_24 Depth=1
	s_or_b32 exec_lo, exec_lo, s5
	v_add_co_u32 v11, vcc_lo, v61, s20
	v_add_co_ci_u32_e32 v12, vcc_lo, s21, v62, vcc_lo
	s_delay_alu instid0(VALU_DEP_1) | instskip(SKIP_1) | instid1(VALU_DEP_2)
	v_cmp_gt_u64_e64 s5, s[16:17], v[11:12]
	v_dual_mov_b32 v11, v13 :: v_dual_mov_b32 v12, v14
	s_and_saveexec_b32 s24, s5
	s_cbranch_execz .LBB1_44
; %bb.43:                               ;   in Loop: Header=BB1_24 Depth=1
	v_add_co_u32 v11, vcc_lo, v63, s14
	v_add_co_ci_u32_e32 v12, vcc_lo, s15, v64, vcc_lo
	v_add_co_u32 v27, vcc_lo, v65, s14
	v_add_co_ci_u32_e32 v28, vcc_lo, s15, v66, vcc_lo
	global_load_b64 v[13:14], v[11:12], off
	global_load_b64 v[11:12], v[27:28], off
.LBB1_44:                               ;   in Loop: Header=BB1_24 Depth=1
	s_or_b32 exec_lo, exec_lo, s24
	v_mov_b32_e32 v27, 0
	v_mov_b32_e32 v28, 0
	s_delay_alu instid0(VALU_DEP_1)
	v_dual_mov_b32 v32, v28 :: v_dual_mov_b32 v31, v27
	v_dual_mov_b32 v34, v28 :: v_dual_mov_b32 v33, v27
	s_and_saveexec_b32 s24, s5
	s_cbranch_execnz .LBB1_81
; %bb.45:                               ;   in Loop: Header=BB1_24 Depth=1
	s_or_b32 exec_lo, exec_lo, s24
	s_and_saveexec_b32 s24, s5
	s_cbranch_execnz .LBB1_82
.LBB1_46:                               ;   in Loop: Header=BB1_24 Depth=1
	s_or_b32 exec_lo, exec_lo, s24
	s_delay_alu instid0(SALU_CYCLE_1)
	s_and_not1_b32 vcc_lo, exec_lo, s30
	s_cbranch_vccnz .LBB1_48
.LBB1_47:                               ;   in Loop: Header=BB1_24 Depth=1
	s_load_b32 s24, s[12:13], 0x0
	s_waitcnt lgkmcnt(0)
	v_cvt_f64_f32_e32 v[93:94], s24
	s_waitcnt vmcnt(0)
	s_delay_alu instid0(VALU_DEP_1) | instskip(NEXT) | instid1(VALU_DEP_1)
	v_div_scale_f64 v[95:96], null, v[93:94], v[93:94], v[5:6]
	v_rcp_f64_e32 v[97:98], v[95:96]
	s_waitcnt_depctr 0xfff
	v_fma_f64 v[99:100], -v[95:96], v[97:98], 1.0
	s_delay_alu instid0(VALU_DEP_1) | instskip(NEXT) | instid1(VALU_DEP_1)
	v_fma_f64 v[97:98], v[97:98], v[99:100], v[97:98]
	v_fma_f64 v[99:100], -v[95:96], v[97:98], 1.0
	s_delay_alu instid0(VALU_DEP_1) | instskip(SKIP_1) | instid1(VALU_DEP_1)
	v_fma_f64 v[97:98], v[97:98], v[99:100], v[97:98]
	v_div_scale_f64 v[99:100], vcc_lo, v[5:6], v[93:94], v[5:6]
	v_mul_f64 v[101:102], v[99:100], v[97:98]
	s_delay_alu instid0(VALU_DEP_1) | instskip(NEXT) | instid1(VALU_DEP_1)
	v_fma_f64 v[95:96], -v[95:96], v[101:102], v[99:100]
	v_div_fmas_f64 v[95:96], v[95:96], v[97:98], v[101:102]
	s_delay_alu instid0(VALU_DEP_1)
	v_div_fixup_f64 v[5:6], v[95:96], v[93:94], v[5:6]
.LBB1_48:                               ;   in Loop: Header=BB1_24 Depth=1
	s_and_not1_b32 vcc_lo, exec_lo, s30
	s_cbranch_vccnz .LBB1_50
; %bb.49:                               ;   in Loop: Header=BB1_24 Depth=1
	s_load_b32 s24, s[12:13], 0x0
	s_waitcnt lgkmcnt(0)
	v_cvt_f64_f32_e32 v[93:94], s24
	s_waitcnt vmcnt(0)
	s_delay_alu instid0(VALU_DEP_1) | instskip(NEXT) | instid1(VALU_DEP_1)
	v_div_scale_f64 v[95:96], null, v[93:94], v[93:94], v[7:8]
	v_rcp_f64_e32 v[97:98], v[95:96]
	s_waitcnt_depctr 0xfff
	v_fma_f64 v[99:100], -v[95:96], v[97:98], 1.0
	s_delay_alu instid0(VALU_DEP_1) | instskip(NEXT) | instid1(VALU_DEP_1)
	v_fma_f64 v[97:98], v[97:98], v[99:100], v[97:98]
	v_fma_f64 v[99:100], -v[95:96], v[97:98], 1.0
	s_delay_alu instid0(VALU_DEP_1) | instskip(SKIP_1) | instid1(VALU_DEP_1)
	v_fma_f64 v[97:98], v[97:98], v[99:100], v[97:98]
	v_div_scale_f64 v[99:100], vcc_lo, v[7:8], v[93:94], v[7:8]
	v_mul_f64 v[101:102], v[99:100], v[97:98]
	s_delay_alu instid0(VALU_DEP_1) | instskip(NEXT) | instid1(VALU_DEP_1)
	v_fma_f64 v[95:96], -v[95:96], v[101:102], v[99:100]
	v_div_fmas_f64 v[95:96], v[95:96], v[97:98], v[101:102]
	s_delay_alu instid0(VALU_DEP_1)
	v_div_fixup_f64 v[7:8], v[95:96], v[93:94], v[7:8]
.LBB1_50:                               ;   in Loop: Header=BB1_24 Depth=1
	s_and_not1_b32 vcc_lo, exec_lo, s30
	s_cbranch_vccnz .LBB1_52
; %bb.51:                               ;   in Loop: Header=BB1_24 Depth=1
	s_load_b32 s24, s[12:13], 0x0
	s_waitcnt lgkmcnt(0)
	v_cvt_f64_f32_e32 v[93:94], s24
	s_waitcnt vmcnt(0)
	s_delay_alu instid0(VALU_DEP_1) | instskip(NEXT) | instid1(VALU_DEP_1)
	v_div_scale_f64 v[95:96], null, v[93:94], v[93:94], v[9:10]
	v_rcp_f64_e32 v[97:98], v[95:96]
	s_waitcnt_depctr 0xfff
	v_fma_f64 v[99:100], -v[95:96], v[97:98], 1.0
	s_delay_alu instid0(VALU_DEP_1) | instskip(NEXT) | instid1(VALU_DEP_1)
	v_fma_f64 v[97:98], v[97:98], v[99:100], v[97:98]
	v_fma_f64 v[99:100], -v[95:96], v[97:98], 1.0
	s_delay_alu instid0(VALU_DEP_1) | instskip(SKIP_1) | instid1(VALU_DEP_1)
	v_fma_f64 v[97:98], v[97:98], v[99:100], v[97:98]
	v_div_scale_f64 v[99:100], vcc_lo, v[9:10], v[93:94], v[9:10]
	v_mul_f64 v[101:102], v[99:100], v[97:98]
	s_delay_alu instid0(VALU_DEP_1) | instskip(NEXT) | instid1(VALU_DEP_1)
	v_fma_f64 v[95:96], -v[95:96], v[101:102], v[99:100]
	v_div_fmas_f64 v[95:96], v[95:96], v[97:98], v[101:102]
	s_delay_alu instid0(VALU_DEP_1)
	v_div_fixup_f64 v[9:10], v[95:96], v[93:94], v[9:10]
.LBB1_52:                               ;   in Loop: Header=BB1_24 Depth=1
	;; [unrolled: 25-line block ×3, first 2 shown]
	s_waitcnt vmcnt(0)
	s_delay_alu instid0(VALU_DEP_1) | instskip(NEXT) | instid1(VALU_DEP_2)
	v_xor_b32_e32 v94, 0x80000000, v6
	v_cndmask_b32_e64 v93, v5, v5, s2
	s_delay_alu instid0(VALU_DEP_2) | instskip(NEXT) | instid1(VALU_DEP_1)
	v_cndmask_b32_e64 v94, v6, v94, s2
	v_mul_f64 v[95:96], v[93:94], v[93:94]
	v_fma_f64 v[93:94], -s[8:9], v[93:94], v[93:94]
	s_delay_alu instid0(VALU_DEP_2) | instskip(NEXT) | instid1(VALU_DEP_1)
	v_fma_f64 v[95:96], -s[10:11], v[95:96], v[95:96]
	v_fma_f64 v[21:22], s[10:11], v[21:22], v[95:96]
	v_max_f64 v[95:96], v[29:30], v[29:30]
	s_delay_alu instid0(VALU_DEP_4) | instskip(NEXT) | instid1(VALU_DEP_2)
	v_fma_f64 v[29:30], s[8:9], v[15:16], v[93:94]
	v_max_f64 v[15:16], v[95:96], v[21:22]
	s_and_saveexec_b32 s24, s1
	s_cbranch_execz .LBB1_56
; %bb.55:                               ;   in Loop: Header=BB1_24 Depth=1
	s_delay_alu instid0(VALU_DEP_1) | instskip(SKIP_1) | instid1(VALU_DEP_1)
	v_cmp_gt_f64_e32 vcc_lo, 0x10000000, v[15:16]
	v_cndmask_b32_e64 v93, 0, 1, vcc_lo
	v_lshlrev_b32_e32 v93, 8, v93
	s_delay_alu instid0(VALU_DEP_1) | instskip(NEXT) | instid1(VALU_DEP_1)
	v_ldexp_f64 v[93:94], v[15:16], v93
	v_rsq_f64_e32 v[95:96], v[93:94]
	s_waitcnt_depctr 0xfff
	v_mul_f64 v[97:98], v[93:94], v[95:96]
	v_mul_f64 v[95:96], v[95:96], 0.5
	s_delay_alu instid0(VALU_DEP_1) | instskip(NEXT) | instid1(VALU_DEP_1)
	v_fma_f64 v[99:100], -v[95:96], v[97:98], 0.5
	v_fma_f64 v[97:98], v[97:98], v[99:100], v[97:98]
	v_fma_f64 v[95:96], v[95:96], v[99:100], v[95:96]
	s_delay_alu instid0(VALU_DEP_2) | instskip(NEXT) | instid1(VALU_DEP_1)
	v_fma_f64 v[99:100], -v[97:98], v[97:98], v[93:94]
	v_fma_f64 v[97:98], v[99:100], v[95:96], v[97:98]
	s_delay_alu instid0(VALU_DEP_1) | instskip(NEXT) | instid1(VALU_DEP_1)
	v_fma_f64 v[99:100], -v[97:98], v[97:98], v[93:94]
	v_fma_f64 v[95:96], v[99:100], v[95:96], v[97:98]
	v_cndmask_b32_e64 v97, 0, 0xffffff80, vcc_lo
	v_cmp_class_f64_e64 vcc_lo, v[93:94], 0x260
	s_delay_alu instid0(VALU_DEP_2) | instskip(NEXT) | instid1(VALU_DEP_1)
	v_ldexp_f64 v[95:96], v[95:96], v97
	v_dual_cndmask_b32 v94, v96, v94 :: v_dual_cndmask_b32 v93, v95, v93
	s_delay_alu instid0(VALU_DEP_1) | instskip(SKIP_1) | instid1(VALU_DEP_2)
	v_div_scale_f64 v[95:96], null, v[49:50], v[49:50], v[93:94]
	v_div_scale_f64 v[101:102], vcc_lo, v[93:94], v[49:50], v[93:94]
	v_rcp_f64_e32 v[97:98], v[95:96]
	s_waitcnt_depctr 0xfff
	v_fma_f64 v[99:100], -v[95:96], v[97:98], 1.0
	s_delay_alu instid0(VALU_DEP_1) | instskip(NEXT) | instid1(VALU_DEP_1)
	v_fma_f64 v[97:98], v[97:98], v[99:100], v[97:98]
	v_fma_f64 v[99:100], -v[95:96], v[97:98], 1.0
	s_delay_alu instid0(VALU_DEP_1) | instskip(NEXT) | instid1(VALU_DEP_1)
	v_fma_f64 v[97:98], v[97:98], v[99:100], v[97:98]
	v_mul_f64 v[99:100], v[101:102], v[97:98]
	s_delay_alu instid0(VALU_DEP_1) | instskip(NEXT) | instid1(VALU_DEP_1)
	v_fma_f64 v[95:96], -v[95:96], v[99:100], v[101:102]
	v_div_fmas_f64 v[95:96], v[95:96], v[97:98], v[99:100]
	s_delay_alu instid0(VALU_DEP_1) | instskip(SKIP_1) | instid1(VALU_DEP_2)
	v_div_fixup_f64 v[93:94], v[95:96], v[49:50], v[93:94]
	v_mul_f64 v[95:96], v[3:4], v[29:30]
	v_add_f64 v[93:94], v[93:94], s[18:19]
	s_delay_alu instid0(VALU_DEP_1) | instskip(NEXT) | instid1(VALU_DEP_1)
	v_div_scale_f64 v[97:98], null, v[93:94], v[93:94], v[95:96]
	v_rcp_f64_e32 v[99:100], v[97:98]
	s_waitcnt_depctr 0xfff
	v_fma_f64 v[101:102], -v[97:98], v[99:100], 1.0
	s_delay_alu instid0(VALU_DEP_1) | instskip(NEXT) | instid1(VALU_DEP_1)
	v_fma_f64 v[99:100], v[99:100], v[101:102], v[99:100]
	v_fma_f64 v[101:102], -v[97:98], v[99:100], 1.0
	s_delay_alu instid0(VALU_DEP_1) | instskip(SKIP_1) | instid1(VALU_DEP_1)
	v_fma_f64 v[99:100], v[99:100], v[101:102], v[99:100]
	v_div_scale_f64 v[101:102], vcc_lo, v[95:96], v[93:94], v[95:96]
	v_mul_f64 v[103:104], v[101:102], v[99:100]
	s_delay_alu instid0(VALU_DEP_1) | instskip(NEXT) | instid1(VALU_DEP_1)
	v_fma_f64 v[97:98], -v[97:98], v[103:104], v[101:102]
	v_div_fmas_f64 v[97:98], v[97:98], v[99:100], v[103:104]
	v_fma_f64 v[99:100], -v[1:2], v[23:24], v[23:24]
	s_delay_alu instid0(VALU_DEP_2) | instskip(NEXT) | instid1(VALU_DEP_2)
	v_div_fixup_f64 v[93:94], v[97:98], v[93:94], v[95:96]
	v_cndmask_b32_e64 v24, v24, v100, s0
	s_delay_alu instid0(VALU_DEP_3) | instskip(NEXT) | instid1(VALU_DEP_1)
	v_cndmask_b32_e64 v23, v23, v99, s0
	v_add_f64 v[23:24], v[23:24], -v[93:94]
	v_add_co_u32 v93, vcc_lo, v45, s14
	v_add_co_ci_u32_e32 v94, vcc_lo, s15, v46, vcc_lo
	global_store_b64 v[93:94], v[23:24], off
.LBB1_56:                               ;   in Loop: Header=BB1_24 Depth=1
	s_or_b32 exec_lo, exec_lo, s24
	v_xor_b32_e32 v24, 0x80000000, v8
	v_cndmask_b32_e64 v23, v7, v7, s2
	s_delay_alu instid0(VALU_DEP_2) | instskip(NEXT) | instid1(VALU_DEP_1)
	v_cndmask_b32_e64 v24, v8, v24, s2
	v_mul_f64 v[93:94], v[23:24], v[23:24]
	v_fma_f64 v[23:24], -s[8:9], v[23:24], v[23:24]
	s_delay_alu instid0(VALU_DEP_2) | instskip(NEXT) | instid1(VALU_DEP_1)
	v_fma_f64 v[93:94], -s[10:11], v[93:94], v[93:94]
	v_fma_f64 v[39:40], s[10:11], v[39:40], v[93:94]
	v_max_f64 v[93:94], v[37:38], v[37:38]
	s_delay_alu instid0(VALU_DEP_4) | instskip(NEXT) | instid1(VALU_DEP_2)
	v_fma_f64 v[37:38], s[8:9], v[41:42], v[23:24]
	v_max_f64 v[23:24], v[93:94], v[39:40]
	s_and_saveexec_b32 s24, s3
	s_cbranch_execz .LBB1_58
; %bb.57:                               ;   in Loop: Header=BB1_24 Depth=1
	s_delay_alu instid0(VALU_DEP_1) | instskip(SKIP_1) | instid1(VALU_DEP_1)
	v_cmp_gt_f64_e32 vcc_lo, 0x10000000, v[23:24]
	v_cndmask_b32_e64 v41, 0, 1, vcc_lo
	v_lshlrev_b32_e32 v41, 8, v41
	s_delay_alu instid0(VALU_DEP_1) | instskip(NEXT) | instid1(VALU_DEP_1)
	v_ldexp_f64 v[41:42], v[23:24], v41
	v_rsq_f64_e32 v[93:94], v[41:42]
	s_waitcnt_depctr 0xfff
	v_mul_f64 v[95:96], v[41:42], v[93:94]
	v_mul_f64 v[93:94], v[93:94], 0.5
	s_delay_alu instid0(VALU_DEP_1) | instskip(NEXT) | instid1(VALU_DEP_1)
	v_fma_f64 v[97:98], -v[93:94], v[95:96], 0.5
	v_fma_f64 v[95:96], v[95:96], v[97:98], v[95:96]
	v_fma_f64 v[93:94], v[93:94], v[97:98], v[93:94]
	s_delay_alu instid0(VALU_DEP_2) | instskip(NEXT) | instid1(VALU_DEP_1)
	v_fma_f64 v[97:98], -v[95:96], v[95:96], v[41:42]
	v_fma_f64 v[95:96], v[97:98], v[93:94], v[95:96]
	s_delay_alu instid0(VALU_DEP_1) | instskip(NEXT) | instid1(VALU_DEP_1)
	v_fma_f64 v[97:98], -v[95:96], v[95:96], v[41:42]
	v_fma_f64 v[93:94], v[97:98], v[93:94], v[95:96]
	v_cndmask_b32_e64 v95, 0, 0xffffff80, vcc_lo
	v_cmp_class_f64_e64 vcc_lo, v[41:42], 0x260
	s_delay_alu instid0(VALU_DEP_2) | instskip(NEXT) | instid1(VALU_DEP_1)
	v_ldexp_f64 v[93:94], v[93:94], v95
	v_dual_cndmask_b32 v42, v94, v42 :: v_dual_cndmask_b32 v41, v93, v41
	s_delay_alu instid0(VALU_DEP_1) | instskip(SKIP_1) | instid1(VALU_DEP_2)
	v_div_scale_f64 v[93:94], null, v[49:50], v[49:50], v[41:42]
	v_div_scale_f64 v[99:100], vcc_lo, v[41:42], v[49:50], v[41:42]
	v_rcp_f64_e32 v[95:96], v[93:94]
	s_waitcnt_depctr 0xfff
	v_fma_f64 v[97:98], -v[93:94], v[95:96], 1.0
	s_delay_alu instid0(VALU_DEP_1) | instskip(NEXT) | instid1(VALU_DEP_1)
	v_fma_f64 v[95:96], v[95:96], v[97:98], v[95:96]
	v_fma_f64 v[97:98], -v[93:94], v[95:96], 1.0
	s_delay_alu instid0(VALU_DEP_1) | instskip(NEXT) | instid1(VALU_DEP_1)
	v_fma_f64 v[95:96], v[95:96], v[97:98], v[95:96]
	v_mul_f64 v[97:98], v[99:100], v[95:96]
	s_delay_alu instid0(VALU_DEP_1) | instskip(NEXT) | instid1(VALU_DEP_1)
	v_fma_f64 v[93:94], -v[93:94], v[97:98], v[99:100]
	v_div_fmas_f64 v[93:94], v[93:94], v[95:96], v[97:98]
	s_delay_alu instid0(VALU_DEP_1) | instskip(SKIP_1) | instid1(VALU_DEP_2)
	v_div_fixup_f64 v[41:42], v[93:94], v[49:50], v[41:42]
	v_mul_f64 v[93:94], v[3:4], v[37:38]
	v_add_f64 v[41:42], v[41:42], s[18:19]
	s_delay_alu instid0(VALU_DEP_1) | instskip(NEXT) | instid1(VALU_DEP_1)
	v_div_scale_f64 v[95:96], null, v[41:42], v[41:42], v[93:94]
	v_rcp_f64_e32 v[97:98], v[95:96]
	s_waitcnt_depctr 0xfff
	v_fma_f64 v[99:100], -v[95:96], v[97:98], 1.0
	s_delay_alu instid0(VALU_DEP_1) | instskip(NEXT) | instid1(VALU_DEP_1)
	v_fma_f64 v[97:98], v[97:98], v[99:100], v[97:98]
	v_fma_f64 v[99:100], -v[95:96], v[97:98], 1.0
	s_delay_alu instid0(VALU_DEP_1) | instskip(SKIP_1) | instid1(VALU_DEP_1)
	v_fma_f64 v[97:98], v[97:98], v[99:100], v[97:98]
	v_div_scale_f64 v[99:100], vcc_lo, v[93:94], v[41:42], v[93:94]
	v_mul_f64 v[101:102], v[99:100], v[97:98]
	s_delay_alu instid0(VALU_DEP_1) | instskip(NEXT) | instid1(VALU_DEP_1)
	v_fma_f64 v[95:96], -v[95:96], v[101:102], v[99:100]
	v_div_fmas_f64 v[95:96], v[95:96], v[97:98], v[101:102]
	v_fma_f64 v[97:98], -v[1:2], v[17:18], v[17:18]
	s_delay_alu instid0(VALU_DEP_2) | instskip(NEXT) | instid1(VALU_DEP_2)
	v_div_fixup_f64 v[41:42], v[95:96], v[41:42], v[93:94]
	v_cndmask_b32_e64 v18, v18, v98, s0
	s_delay_alu instid0(VALU_DEP_3) | instskip(NEXT) | instid1(VALU_DEP_1)
	v_cndmask_b32_e64 v17, v17, v97, s0
	v_add_f64 v[17:18], v[17:18], -v[41:42]
	v_add_co_u32 v41, vcc_lo, v83, s14
	v_add_co_ci_u32_e32 v42, vcc_lo, s15, v84, vcc_lo
	global_store_b64 v[41:42], v[17:18], off
.LBB1_58:                               ;   in Loop: Header=BB1_24 Depth=1
	s_or_b32 exec_lo, exec_lo, s24
	v_xor_b32_e32 v18, 0x80000000, v10
	v_cndmask_b32_e64 v17, v9, v9, s2
	s_delay_alu instid0(VALU_DEP_2) | instskip(NEXT) | instid1(VALU_DEP_1)
	v_cndmask_b32_e64 v18, v10, v18, s2
	v_mul_f64 v[41:42], v[17:18], v[17:18]
	v_fma_f64 v[17:18], -s[8:9], v[17:18], v[17:18]
	s_delay_alu instid0(VALU_DEP_2) | instskip(NEXT) | instid1(VALU_DEP_2)
	v_fma_f64 v[41:42], -s[10:11], v[41:42], v[41:42]
	v_fma_f64 v[25:26], s[8:9], v[25:26], v[17:18]
	s_delay_alu instid0(VALU_DEP_2) | instskip(SKIP_1) | instid1(VALU_DEP_1)
	v_fma_f64 v[35:36], s[10:11], v[35:36], v[41:42]
	v_max_f64 v[41:42], v[43:44], v[43:44]
	v_max_f64 v[17:18], v[41:42], v[35:36]
	s_and_saveexec_b32 s24, s4
	s_cbranch_execz .LBB1_60
; %bb.59:                               ;   in Loop: Header=BB1_24 Depth=1
	s_delay_alu instid0(VALU_DEP_1) | instskip(SKIP_1) | instid1(VALU_DEP_1)
	v_cmp_gt_f64_e32 vcc_lo, 0x10000000, v[17:18]
	v_cndmask_b32_e64 v41, 0, 1, vcc_lo
	v_lshlrev_b32_e32 v41, 8, v41
	s_delay_alu instid0(VALU_DEP_1) | instskip(NEXT) | instid1(VALU_DEP_1)
	v_ldexp_f64 v[41:42], v[17:18], v41
	v_rsq_f64_e32 v[43:44], v[41:42]
	s_waitcnt_depctr 0xfff
	v_mul_f64 v[93:94], v[41:42], v[43:44]
	v_mul_f64 v[43:44], v[43:44], 0.5
	s_delay_alu instid0(VALU_DEP_1) | instskip(NEXT) | instid1(VALU_DEP_1)
	v_fma_f64 v[95:96], -v[43:44], v[93:94], 0.5
	v_fma_f64 v[93:94], v[93:94], v[95:96], v[93:94]
	v_fma_f64 v[43:44], v[43:44], v[95:96], v[43:44]
	s_delay_alu instid0(VALU_DEP_2) | instskip(NEXT) | instid1(VALU_DEP_1)
	v_fma_f64 v[95:96], -v[93:94], v[93:94], v[41:42]
	v_fma_f64 v[93:94], v[95:96], v[43:44], v[93:94]
	s_delay_alu instid0(VALU_DEP_1) | instskip(NEXT) | instid1(VALU_DEP_1)
	v_fma_f64 v[95:96], -v[93:94], v[93:94], v[41:42]
	v_fma_f64 v[43:44], v[95:96], v[43:44], v[93:94]
	v_cndmask_b32_e64 v93, 0, 0xffffff80, vcc_lo
	v_cmp_class_f64_e64 vcc_lo, v[41:42], 0x260
	s_delay_alu instid0(VALU_DEP_2) | instskip(NEXT) | instid1(VALU_DEP_1)
	v_ldexp_f64 v[43:44], v[43:44], v93
	v_dual_cndmask_b32 v42, v44, v42 :: v_dual_cndmask_b32 v41, v43, v41
	s_delay_alu instid0(VALU_DEP_1) | instskip(SKIP_1) | instid1(VALU_DEP_2)
	v_div_scale_f64 v[43:44], null, v[49:50], v[49:50], v[41:42]
	v_div_scale_f64 v[97:98], vcc_lo, v[41:42], v[49:50], v[41:42]
	v_rcp_f64_e32 v[93:94], v[43:44]
	s_waitcnt_depctr 0xfff
	v_fma_f64 v[95:96], -v[43:44], v[93:94], 1.0
	s_delay_alu instid0(VALU_DEP_1) | instskip(NEXT) | instid1(VALU_DEP_1)
	v_fma_f64 v[93:94], v[93:94], v[95:96], v[93:94]
	v_fma_f64 v[95:96], -v[43:44], v[93:94], 1.0
	s_delay_alu instid0(VALU_DEP_1) | instskip(NEXT) | instid1(VALU_DEP_1)
	v_fma_f64 v[93:94], v[93:94], v[95:96], v[93:94]
	v_mul_f64 v[95:96], v[97:98], v[93:94]
	s_delay_alu instid0(VALU_DEP_1) | instskip(NEXT) | instid1(VALU_DEP_1)
	v_fma_f64 v[43:44], -v[43:44], v[95:96], v[97:98]
	v_div_fmas_f64 v[43:44], v[43:44], v[93:94], v[95:96]
	s_delay_alu instid0(VALU_DEP_1) | instskip(SKIP_1) | instid1(VALU_DEP_2)
	v_div_fixup_f64 v[41:42], v[43:44], v[49:50], v[41:42]
	v_mul_f64 v[43:44], v[3:4], v[25:26]
	v_add_f64 v[41:42], v[41:42], s[18:19]
	s_delay_alu instid0(VALU_DEP_1) | instskip(NEXT) | instid1(VALU_DEP_1)
	v_div_scale_f64 v[93:94], null, v[41:42], v[41:42], v[43:44]
	v_rcp_f64_e32 v[95:96], v[93:94]
	s_waitcnt_depctr 0xfff
	v_fma_f64 v[97:98], -v[93:94], v[95:96], 1.0
	s_delay_alu instid0(VALU_DEP_1) | instskip(NEXT) | instid1(VALU_DEP_1)
	v_fma_f64 v[95:96], v[95:96], v[97:98], v[95:96]
	v_fma_f64 v[97:98], -v[93:94], v[95:96], 1.0
	s_delay_alu instid0(VALU_DEP_1) | instskip(SKIP_1) | instid1(VALU_DEP_1)
	v_fma_f64 v[95:96], v[95:96], v[97:98], v[95:96]
	v_div_scale_f64 v[97:98], vcc_lo, v[43:44], v[41:42], v[43:44]
	v_mul_f64 v[99:100], v[97:98], v[95:96]
	s_delay_alu instid0(VALU_DEP_1) | instskip(NEXT) | instid1(VALU_DEP_1)
	v_fma_f64 v[93:94], -v[93:94], v[99:100], v[97:98]
	v_div_fmas_f64 v[93:94], v[93:94], v[95:96], v[99:100]
	v_fma_f64 v[95:96], -v[1:2], v[19:20], v[19:20]
	s_delay_alu instid0(VALU_DEP_2) | instskip(NEXT) | instid1(VALU_DEP_2)
	v_div_fixup_f64 v[41:42], v[93:94], v[41:42], v[43:44]
	v_cndmask_b32_e64 v20, v20, v96, s0
	s_delay_alu instid0(VALU_DEP_3) | instskip(NEXT) | instid1(VALU_DEP_1)
	v_cndmask_b32_e64 v19, v19, v95, s0
	v_add_f64 v[19:20], v[19:20], -v[41:42]
	v_add_co_u32 v41, vcc_lo, v73, s14
	v_add_co_ci_u32_e32 v42, vcc_lo, s15, v74, vcc_lo
	global_store_b64 v[41:42], v[19:20], off
.LBB1_60:                               ;   in Loop: Header=BB1_24 Depth=1
	s_or_b32 exec_lo, exec_lo, s24
	v_xor_b32_e32 v20, 0x80000000, v12
	v_cndmask_b32_e64 v19, v11, v11, s2
	s_delay_alu instid0(VALU_DEP_2) | instskip(NEXT) | instid1(VALU_DEP_1)
	v_cndmask_b32_e64 v20, v12, v20, s2
	v_mul_f64 v[41:42], v[19:20], v[19:20]
	v_fma_f64 v[19:20], -s[8:9], v[19:20], v[19:20]
	s_delay_alu instid0(VALU_DEP_2) | instskip(NEXT) | instid1(VALU_DEP_1)
	v_fma_f64 v[41:42], -s[10:11], v[41:42], v[41:42]
	v_fma_f64 v[33:34], s[10:11], v[33:34], v[41:42]
	v_max_f64 v[41:42], v[27:28], v[27:28]
	s_delay_alu instid0(VALU_DEP_4) | instskip(NEXT) | instid1(VALU_DEP_2)
	v_fma_f64 v[27:28], s[8:9], v[31:32], v[19:20]
	v_max_f64 v[19:20], v[41:42], v[33:34]
	s_and_saveexec_b32 s24, s5
	s_cbranch_execz .LBB1_62
; %bb.61:                               ;   in Loop: Header=BB1_24 Depth=1
	s_delay_alu instid0(VALU_DEP_1) | instskip(SKIP_1) | instid1(VALU_DEP_1)
	v_cmp_gt_f64_e32 vcc_lo, 0x10000000, v[19:20]
	v_cndmask_b32_e64 v31, 0, 1, vcc_lo
	v_lshlrev_b32_e32 v31, 8, v31
	s_delay_alu instid0(VALU_DEP_1) | instskip(NEXT) | instid1(VALU_DEP_1)
	v_ldexp_f64 v[31:32], v[19:20], v31
	v_rsq_f64_e32 v[41:42], v[31:32]
	s_waitcnt_depctr 0xfff
	v_mul_f64 v[43:44], v[31:32], v[41:42]
	v_mul_f64 v[41:42], v[41:42], 0.5
	s_delay_alu instid0(VALU_DEP_1) | instskip(NEXT) | instid1(VALU_DEP_1)
	v_fma_f64 v[93:94], -v[41:42], v[43:44], 0.5
	v_fma_f64 v[43:44], v[43:44], v[93:94], v[43:44]
	v_fma_f64 v[41:42], v[41:42], v[93:94], v[41:42]
	s_delay_alu instid0(VALU_DEP_2) | instskip(NEXT) | instid1(VALU_DEP_1)
	v_fma_f64 v[93:94], -v[43:44], v[43:44], v[31:32]
	v_fma_f64 v[43:44], v[93:94], v[41:42], v[43:44]
	s_delay_alu instid0(VALU_DEP_1) | instskip(NEXT) | instid1(VALU_DEP_1)
	v_fma_f64 v[93:94], -v[43:44], v[43:44], v[31:32]
	v_fma_f64 v[41:42], v[93:94], v[41:42], v[43:44]
	v_cndmask_b32_e64 v43, 0, 0xffffff80, vcc_lo
	v_cmp_class_f64_e64 vcc_lo, v[31:32], 0x260
	s_delay_alu instid0(VALU_DEP_2) | instskip(NEXT) | instid1(VALU_DEP_1)
	v_ldexp_f64 v[41:42], v[41:42], v43
	v_dual_cndmask_b32 v32, v42, v32 :: v_dual_cndmask_b32 v31, v41, v31
	s_delay_alu instid0(VALU_DEP_1) | instskip(SKIP_1) | instid1(VALU_DEP_2)
	v_div_scale_f64 v[41:42], null, v[49:50], v[49:50], v[31:32]
	v_div_scale_f64 v[95:96], vcc_lo, v[31:32], v[49:50], v[31:32]
	v_rcp_f64_e32 v[43:44], v[41:42]
	s_waitcnt_depctr 0xfff
	v_fma_f64 v[93:94], -v[41:42], v[43:44], 1.0
	s_delay_alu instid0(VALU_DEP_1) | instskip(NEXT) | instid1(VALU_DEP_1)
	v_fma_f64 v[43:44], v[43:44], v[93:94], v[43:44]
	v_fma_f64 v[93:94], -v[41:42], v[43:44], 1.0
	s_delay_alu instid0(VALU_DEP_1) | instskip(NEXT) | instid1(VALU_DEP_1)
	v_fma_f64 v[43:44], v[43:44], v[93:94], v[43:44]
	v_mul_f64 v[93:94], v[95:96], v[43:44]
	s_delay_alu instid0(VALU_DEP_1) | instskip(NEXT) | instid1(VALU_DEP_1)
	v_fma_f64 v[41:42], -v[41:42], v[93:94], v[95:96]
	v_div_fmas_f64 v[41:42], v[41:42], v[43:44], v[93:94]
	s_delay_alu instid0(VALU_DEP_1) | instskip(SKIP_1) | instid1(VALU_DEP_2)
	v_div_fixup_f64 v[31:32], v[41:42], v[49:50], v[31:32]
	v_mul_f64 v[41:42], v[3:4], v[27:28]
	v_add_f64 v[31:32], v[31:32], s[18:19]
	s_delay_alu instid0(VALU_DEP_1) | instskip(NEXT) | instid1(VALU_DEP_1)
	v_div_scale_f64 v[43:44], null, v[31:32], v[31:32], v[41:42]
	v_rcp_f64_e32 v[93:94], v[43:44]
	s_waitcnt_depctr 0xfff
	v_fma_f64 v[95:96], -v[43:44], v[93:94], 1.0
	s_delay_alu instid0(VALU_DEP_1) | instskip(NEXT) | instid1(VALU_DEP_1)
	v_fma_f64 v[93:94], v[93:94], v[95:96], v[93:94]
	v_fma_f64 v[95:96], -v[43:44], v[93:94], 1.0
	s_delay_alu instid0(VALU_DEP_1) | instskip(SKIP_1) | instid1(VALU_DEP_1)
	v_fma_f64 v[93:94], v[93:94], v[95:96], v[93:94]
	v_div_scale_f64 v[95:96], vcc_lo, v[41:42], v[31:32], v[41:42]
	v_mul_f64 v[97:98], v[95:96], v[93:94]
	s_delay_alu instid0(VALU_DEP_1) | instskip(NEXT) | instid1(VALU_DEP_1)
	v_fma_f64 v[43:44], -v[43:44], v[97:98], v[95:96]
	v_div_fmas_f64 v[43:44], v[43:44], v[93:94], v[97:98]
	v_fma_f64 v[93:94], -v[1:2], v[13:14], v[13:14]
	s_delay_alu instid0(VALU_DEP_2) | instskip(NEXT) | instid1(VALU_DEP_2)
	v_div_fixup_f64 v[31:32], v[43:44], v[31:32], v[41:42]
	v_cndmask_b32_e64 v14, v14, v94, s0
	s_delay_alu instid0(VALU_DEP_3) | instskip(NEXT) | instid1(VALU_DEP_1)
	v_cndmask_b32_e64 v13, v13, v93, s0
	v_add_f64 v[13:14], v[13:14], -v[31:32]
	v_add_co_u32 v31, vcc_lo, v63, s14
	v_add_co_ci_u32_e32 v32, vcc_lo, s15, v64, vcc_lo
	global_store_b64 v[31:32], v[13:14], off
.LBB1_62:                               ;   in Loop: Header=BB1_24 Depth=1
	s_or_b32 exec_lo, exec_lo, s24
	s_delay_alu instid0(SALU_CYCLE_1)
	s_and_not1_b32 vcc_lo, exec_lo, s30
	s_cbranch_vccnz .LBB1_69
; %bb.63:                               ;   in Loop: Header=BB1_24 Depth=1
	s_and_saveexec_b32 s24, s1
	s_cbranch_execnz .LBB1_95
; %bb.64:                               ;   in Loop: Header=BB1_24 Depth=1
	s_or_b32 exec_lo, exec_lo, s24
	s_and_saveexec_b32 s24, s3
	s_cbranch_execnz .LBB1_96
.LBB1_65:                               ;   in Loop: Header=BB1_24 Depth=1
	s_or_b32 exec_lo, exec_lo, s24
	s_and_saveexec_b32 s24, s4
	s_cbranch_execnz .LBB1_97
.LBB1_66:                               ;   in Loop: Header=BB1_24 Depth=1
	s_or_b32 exec_lo, exec_lo, s24
	s_and_saveexec_b32 s24, s5
	s_cbranch_execz .LBB1_68
.LBB1_67:                               ;   in Loop: Header=BB1_24 Depth=1
	v_add_co_u32 v5, vcc_lo, v65, s14
	v_add_co_ci_u32_e32 v6, vcc_lo, s15, v66, vcc_lo
	global_store_b64 v[5:6], v[11:12], off
.LBB1_68:                               ;   in Loop: Header=BB1_24 Depth=1
	s_or_b32 exec_lo, exec_lo, s24
.LBB1_69:                               ;   in Loop: Header=BB1_24 Depth=1
	s_and_saveexec_b32 s24, s1
	s_cbranch_execnz .LBB1_83
; %bb.70:                               ;   in Loop: Header=BB1_24 Depth=1
	s_or_b32 exec_lo, exec_lo, s24
	s_and_saveexec_b32 s24, s3
	s_cbranch_execnz .LBB1_84
.LBB1_71:                               ;   in Loop: Header=BB1_24 Depth=1
	s_or_b32 exec_lo, exec_lo, s24
	s_and_saveexec_b32 s24, s4
	s_cbranch_execnz .LBB1_85
.LBB1_72:                               ;   in Loop: Header=BB1_24 Depth=1
	s_or_b32 exec_lo, exec_lo, s24
	s_and_saveexec_b32 s24, s5
	s_cbranch_execnz .LBB1_86
.LBB1_73:                               ;   in Loop: Header=BB1_24 Depth=1
	s_or_b32 exec_lo, exec_lo, s24
	s_and_saveexec_b32 s24, s1
	s_cbranch_execnz .LBB1_87
.LBB1_74:                               ;   in Loop: Header=BB1_24 Depth=1
	s_or_b32 exec_lo, exec_lo, s24
	s_and_saveexec_b32 s24, s3
	s_cbranch_execnz .LBB1_88
.LBB1_75:                               ;   in Loop: Header=BB1_24 Depth=1
	s_or_b32 exec_lo, exec_lo, s24
	s_and_saveexec_b32 s24, s4
	s_cbranch_execnz .LBB1_89
.LBB1_76:                               ;   in Loop: Header=BB1_24 Depth=1
	s_or_b32 exec_lo, exec_lo, s24
	s_and_saveexec_b32 s24, s5
	s_cbranch_execnz .LBB1_90
.LBB1_77:                               ;   in Loop: Header=BB1_24 Depth=1
	s_or_b32 exec_lo, exec_lo, s24
	s_and_saveexec_b32 s24, s1
	s_cbranch_execnz .LBB1_91
.LBB1_78:                               ;   in Loop: Header=BB1_24 Depth=1
	s_or_b32 exec_lo, exec_lo, s24
	s_and_saveexec_b32 s1, s3
	s_cbranch_execnz .LBB1_92
.LBB1_79:                               ;   in Loop: Header=BB1_24 Depth=1
	s_or_b32 exec_lo, exec_lo, s1
	s_and_saveexec_b32 s1, s4
	s_cbranch_execnz .LBB1_93
.LBB1_80:                               ;   in Loop: Header=BB1_24 Depth=1
	s_or_b32 exec_lo, exec_lo, s1
	s_and_saveexec_b32 s1, s5
	s_cbranch_execz .LBB1_23
	s_branch .LBB1_94
.LBB1_81:                               ;   in Loop: Header=BB1_24 Depth=1
	v_add_co_u32 v31, vcc_lo, v67, s14
	v_add_co_ci_u32_e32 v32, vcc_lo, s15, v68, vcc_lo
	v_add_co_u32 v33, vcc_lo, v69, s14
	v_add_co_ci_u32_e32 v34, vcc_lo, s15, v70, vcc_lo
	global_load_b64 v[31:32], v[31:32], off
	global_load_b64 v[33:34], v[33:34], off
	s_or_b32 exec_lo, exec_lo, s24
	s_and_saveexec_b32 s24, s5
	s_cbranch_execz .LBB1_46
.LBB1_82:                               ;   in Loop: Header=BB1_24 Depth=1
	v_add_co_u32 v27, vcc_lo, v71, s14
	v_add_co_ci_u32_e32 v28, vcc_lo, s15, v72, vcc_lo
	global_load_b64 v[27:28], v[27:28], off
	s_or_b32 exec_lo, exec_lo, s24
	s_delay_alu instid0(SALU_CYCLE_1)
	s_and_not1_b32 vcc_lo, exec_lo, s30
	s_cbranch_vccz .LBB1_47
	s_branch .LBB1_48
.LBB1_83:                               ;   in Loop: Header=BB1_24 Depth=1
	v_add_co_u32 v5, vcc_lo, v55, s14
	v_add_co_ci_u32_e32 v6, vcc_lo, s15, v56, vcc_lo
	global_store_b64 v[5:6], v[29:30], off
	s_or_b32 exec_lo, exec_lo, s24
	s_and_saveexec_b32 s24, s3
	s_cbranch_execz .LBB1_71
.LBB1_84:                               ;   in Loop: Header=BB1_24 Depth=1
	v_add_co_u32 v5, vcc_lo, v87, s14
	v_add_co_ci_u32_e32 v6, vcc_lo, s15, v88, vcc_lo
	global_store_b64 v[5:6], v[37:38], off
	s_or_b32 exec_lo, exec_lo, s24
	s_and_saveexec_b32 s24, s4
	s_cbranch_execz .LBB1_72
.LBB1_85:                               ;   in Loop: Header=BB1_24 Depth=1
	v_add_co_u32 v5, vcc_lo, v77, s14
	v_add_co_ci_u32_e32 v6, vcc_lo, s15, v78, vcc_lo
	global_store_b64 v[5:6], v[25:26], off
	s_or_b32 exec_lo, exec_lo, s24
	s_and_saveexec_b32 s24, s5
	s_cbranch_execz .LBB1_73
.LBB1_86:                               ;   in Loop: Header=BB1_24 Depth=1
	v_add_co_u32 v5, vcc_lo, v67, s14
	v_add_co_ci_u32_e32 v6, vcc_lo, s15, v68, vcc_lo
	global_store_b64 v[5:6], v[27:28], off
	s_or_b32 exec_lo, exec_lo, s24
	s_and_saveexec_b32 s24, s1
	s_cbranch_execz .LBB1_74
.LBB1_87:                               ;   in Loop: Header=BB1_24 Depth=1
	v_add_co_u32 v5, vcc_lo, v57, s14
	v_add_co_ci_u32_e32 v6, vcc_lo, s15, v58, vcc_lo
	global_store_b64 v[5:6], v[21:22], off
	s_or_b32 exec_lo, exec_lo, s24
	s_and_saveexec_b32 s24, s3
	s_cbranch_execz .LBB1_75
.LBB1_88:                               ;   in Loop: Header=BB1_24 Depth=1
	v_add_co_u32 v5, vcc_lo, v89, s14
	v_add_co_ci_u32_e32 v6, vcc_lo, s15, v90, vcc_lo
	global_store_b64 v[5:6], v[39:40], off
	s_or_b32 exec_lo, exec_lo, s24
	s_and_saveexec_b32 s24, s4
	s_cbranch_execz .LBB1_76
.LBB1_89:                               ;   in Loop: Header=BB1_24 Depth=1
	v_add_co_u32 v5, vcc_lo, v47, s14
	v_add_co_ci_u32_e32 v6, vcc_lo, s15, v48, vcc_lo
	global_store_b64 v[5:6], v[35:36], off
	s_or_b32 exec_lo, exec_lo, s24
	s_and_saveexec_b32 s24, s5
	s_cbranch_execz .LBB1_77
.LBB1_90:                               ;   in Loop: Header=BB1_24 Depth=1
	v_add_co_u32 v5, vcc_lo, v69, s14
	v_add_co_ci_u32_e32 v6, vcc_lo, s15, v70, vcc_lo
	global_store_b64 v[5:6], v[33:34], off
	s_or_b32 exec_lo, exec_lo, s24
	s_and_saveexec_b32 s24, s1
	s_cbranch_execz .LBB1_78
.LBB1_91:                               ;   in Loop: Header=BB1_24 Depth=1
	v_add_co_u32 v5, vcc_lo, v59, s14
	v_add_co_ci_u32_e32 v6, vcc_lo, s15, v60, vcc_lo
	global_store_b64 v[5:6], v[15:16], off
	s_or_b32 exec_lo, exec_lo, s24
	s_and_saveexec_b32 s1, s3
	s_cbranch_execz .LBB1_79
.LBB1_92:                               ;   in Loop: Header=BB1_24 Depth=1
	v_add_co_u32 v5, vcc_lo, v91, s14
	v_add_co_ci_u32_e32 v6, vcc_lo, s15, v92, vcc_lo
	global_store_b64 v[5:6], v[23:24], off
	s_or_b32 exec_lo, exec_lo, s1
	s_and_saveexec_b32 s1, s4
	s_cbranch_execz .LBB1_80
.LBB1_93:                               ;   in Loop: Header=BB1_24 Depth=1
	v_add_co_u32 v5, vcc_lo, v52, s14
	v_add_co_ci_u32_e32 v6, vcc_lo, s15, v79, vcc_lo
	global_store_b64 v[5:6], v[17:18], off
	s_or_b32 exec_lo, exec_lo, s1
	s_and_saveexec_b32 s1, s5
	s_cbranch_execz .LBB1_23
.LBB1_94:                               ;   in Loop: Header=BB1_24 Depth=1
	v_add_co_u32 v5, vcc_lo, v71, s14
	v_add_co_ci_u32_e32 v6, vcc_lo, s15, v72, vcc_lo
	global_store_b64 v[5:6], v[19:20], off
	s_branch .LBB1_23
.LBB1_95:                               ;   in Loop: Header=BB1_24 Depth=1
	v_add_co_u32 v13, vcc_lo, v53, s14
	v_add_co_ci_u32_e32 v14, vcc_lo, s15, v54, vcc_lo
	global_store_b64 v[13:14], v[5:6], off
	s_or_b32 exec_lo, exec_lo, s24
	s_and_saveexec_b32 s24, s3
	s_cbranch_execz .LBB1_65
.LBB1_96:                               ;   in Loop: Header=BB1_24 Depth=1
	v_add_co_u32 v5, vcc_lo, v85, s14
	v_add_co_ci_u32_e32 v6, vcc_lo, s15, v86, vcc_lo
	global_store_b64 v[5:6], v[7:8], off
	s_or_b32 exec_lo, exec_lo, s24
	s_and_saveexec_b32 s24, s4
	s_cbranch_execz .LBB1_66
.LBB1_97:                               ;   in Loop: Header=BB1_24 Depth=1
	v_add_co_u32 v5, vcc_lo, v75, s14
	v_add_co_ci_u32_e32 v6, vcc_lo, s15, v76, vcc_lo
	global_store_b64 v[5:6], v[9:10], off
	s_or_b32 exec_lo, exec_lo, s24
	s_and_saveexec_b32 s24, s5
	s_cbranch_execnz .LBB1_67
	s_branch .LBB1_68
.LBB1_98:
	s_nop 0
	s_sendmsg sendmsg(MSG_DEALLOC_VGPRS)
	s_endpgm
	.section	.rodata,"a",@progbits
	.p2align	6, 0x0
	.amdhsa_kernel _ZN2at6native12_GLOBAL__N_125multi_tensor_apply_kernelINS1_32FusedOptimizerTensorListMetadataILi5EEENS1_20FusedAdamMathFunctorIdLi5ELNS0_9ADAM_MODEE1ELb1EEEJPKfdddddbS9_S9_EEEvT_T0_DpT1_
		.amdhsa_group_segment_fixed_size 0
		.amdhsa_private_segment_fixed_size 0
		.amdhsa_kernarg_size 3624
		.amdhsa_user_sgpr_count 15
		.amdhsa_user_sgpr_dispatch_ptr 0
		.amdhsa_user_sgpr_queue_ptr 0
		.amdhsa_user_sgpr_kernarg_segment_ptr 1
		.amdhsa_user_sgpr_dispatch_id 0
		.amdhsa_user_sgpr_private_segment_size 0
		.amdhsa_wavefront_size32 1
		.amdhsa_uses_dynamic_stack 0
		.amdhsa_enable_private_segment 0
		.amdhsa_system_sgpr_workgroup_id_x 1
		.amdhsa_system_sgpr_workgroup_id_y 0
		.amdhsa_system_sgpr_workgroup_id_z 0
		.amdhsa_system_sgpr_workgroup_info 0
		.amdhsa_system_vgpr_workitem_id 0
		.amdhsa_next_free_vgpr 106
		.amdhsa_next_free_sgpr 91
		.amdhsa_reserve_vcc 1
		.amdhsa_float_round_mode_32 0
		.amdhsa_float_round_mode_16_64 0
		.amdhsa_float_denorm_mode_32 3
		.amdhsa_float_denorm_mode_16_64 3
		.amdhsa_dx10_clamp 1
		.amdhsa_ieee_mode 1
		.amdhsa_fp16_overflow 0
		.amdhsa_workgroup_processor_mode 1
		.amdhsa_memory_ordered 1
		.amdhsa_forward_progress 0
		.amdhsa_shared_vgpr_count 0
		.amdhsa_exception_fp_ieee_invalid_op 0
		.amdhsa_exception_fp_denorm_src 0
		.amdhsa_exception_fp_ieee_div_zero 0
		.amdhsa_exception_fp_ieee_overflow 0
		.amdhsa_exception_fp_ieee_underflow 0
		.amdhsa_exception_fp_ieee_inexact 0
		.amdhsa_exception_int_div_zero 0
	.end_amdhsa_kernel
	.section	.text._ZN2at6native12_GLOBAL__N_125multi_tensor_apply_kernelINS1_32FusedOptimizerTensorListMetadataILi5EEENS1_20FusedAdamMathFunctorIdLi5ELNS0_9ADAM_MODEE1ELb1EEEJPKfdddddbS9_S9_EEEvT_T0_DpT1_,"axG",@progbits,_ZN2at6native12_GLOBAL__N_125multi_tensor_apply_kernelINS1_32FusedOptimizerTensorListMetadataILi5EEENS1_20FusedAdamMathFunctorIdLi5ELNS0_9ADAM_MODEE1ELb1EEEJPKfdddddbS9_S9_EEEvT_T0_DpT1_,comdat
.Lfunc_end1:
	.size	_ZN2at6native12_GLOBAL__N_125multi_tensor_apply_kernelINS1_32FusedOptimizerTensorListMetadataILi5EEENS1_20FusedAdamMathFunctorIdLi5ELNS0_9ADAM_MODEE1ELb1EEEJPKfdddddbS9_S9_EEEvT_T0_DpT1_, .Lfunc_end1-_ZN2at6native12_GLOBAL__N_125multi_tensor_apply_kernelINS1_32FusedOptimizerTensorListMetadataILi5EEENS1_20FusedAdamMathFunctorIdLi5ELNS0_9ADAM_MODEE1ELb1EEEJPKfdddddbS9_S9_EEEvT_T0_DpT1_
                                        ; -- End function
	.section	.AMDGPU.csdata,"",@progbits
; Kernel info:
; codeLenInByte = 13372
; NumSgprs: 93
; NumVgprs: 106
; ScratchSize: 0
; MemoryBound: 0
; FloatMode: 240
; IeeeMode: 1
; LDSByteSize: 0 bytes/workgroup (compile time only)
; SGPRBlocks: 11
; VGPRBlocks: 13
; NumSGPRsForWavesPerEU: 93
; NumVGPRsForWavesPerEU: 106
; Occupancy: 12
; WaveLimiterHint : 0
; COMPUTE_PGM_RSRC2:SCRATCH_EN: 0
; COMPUTE_PGM_RSRC2:USER_SGPR: 15
; COMPUTE_PGM_RSRC2:TRAP_HANDLER: 0
; COMPUTE_PGM_RSRC2:TGID_X_EN: 1
; COMPUTE_PGM_RSRC2:TGID_Y_EN: 0
; COMPUTE_PGM_RSRC2:TGID_Z_EN: 0
; COMPUTE_PGM_RSRC2:TIDIG_COMP_CNT: 0
	.section	.text._ZN2at6native12_GLOBAL__N_125multi_tensor_apply_kernelINS1_32FusedOptimizerTensorListMetadataILi5EEENS1_20FusedAdamMathFunctorIfLi5ELNS0_9ADAM_MODEE1ELb1EEEJPKfdddddbS9_S9_EEEvT_T0_DpT1_,"axG",@progbits,_ZN2at6native12_GLOBAL__N_125multi_tensor_apply_kernelINS1_32FusedOptimizerTensorListMetadataILi5EEENS1_20FusedAdamMathFunctorIfLi5ELNS0_9ADAM_MODEE1ELb1EEEJPKfdddddbS9_S9_EEEvT_T0_DpT1_,comdat
	.globl	_ZN2at6native12_GLOBAL__N_125multi_tensor_apply_kernelINS1_32FusedOptimizerTensorListMetadataILi5EEENS1_20FusedAdamMathFunctorIfLi5ELNS0_9ADAM_MODEE1ELb1EEEJPKfdddddbS9_S9_EEEvT_T0_DpT1_ ; -- Begin function _ZN2at6native12_GLOBAL__N_125multi_tensor_apply_kernelINS1_32FusedOptimizerTensorListMetadataILi5EEENS1_20FusedAdamMathFunctorIfLi5ELNS0_9ADAM_MODEE1ELb1EEEJPKfdddddbS9_S9_EEEvT_T0_DpT1_
	.p2align	8
	.type	_ZN2at6native12_GLOBAL__N_125multi_tensor_apply_kernelINS1_32FusedOptimizerTensorListMetadataILi5EEENS1_20FusedAdamMathFunctorIfLi5ELNS0_9ADAM_MODEE1ELb1EEEJPKfdddddbS9_S9_EEEvT_T0_DpT1_,@function
_ZN2at6native12_GLOBAL__N_125multi_tensor_apply_kernelINS1_32FusedOptimizerTensorListMetadataILi5EEENS1_20FusedAdamMathFunctorIfLi5ELNS0_9ADAM_MODEE1ELb1EEEJPKfdddddbS9_S9_EEEvT_T0_DpT1_: ; @_ZN2at6native12_GLOBAL__N_125multi_tensor_apply_kernelINS1_32FusedOptimizerTensorListMetadataILi5EEENS1_20FusedAdamMathFunctorIfLi5ELNS0_9ADAM_MODEE1ELb1EEEJPKfdddddbS9_S9_EEEvT_T0_DpT1_
; %bb.0:
	v_mov_b32_e32 v1, s15
	s_add_u32 s3, s0, s15
	s_mul_hi_u32 s12, s15, 3
	s_mul_i32 s15, s15, 3
	s_addc_u32 s13, s1, 0
	global_load_u8 v1, v1, s[0:1] offset:1680
	s_clause 0x1
	s_load_b256 s[4:11], s[0:1], 0xce0
	s_load_b128 s[16:19], s[0:1], 0xd00
	s_add_u32 s20, s3, s15
	s_addc_u32 s21, s13, s12
	s_mov_b32 s3, 0
	s_waitcnt lgkmcnt(0)
	s_cmp_eq_u64 s[4:5], 0
	s_waitcnt vmcnt(0)
	v_readfirstlane_b32 s2, v1
	s_cbranch_scc1 .LBB2_20
; %bb.1:
	s_load_b32 s4, s[4:5], 0x0
	s_waitcnt lgkmcnt(0)
	v_mov_b32_e32 v42, s4
	s_and_not1_b32 vcc_lo, exec_lo, s3
	s_cbranch_vccnz .LBB2_3
.LBB2_2:
	v_cvt_f32_f64_e32 v42, s[6:7]
.LBB2_3:
	s_load_b128 s[12:15], s[0:1], 0xd18
	s_waitcnt lgkmcnt(0)
	s_cmp_eq_u64 s[14:15], 0
	s_cselect_b32 s3, -1, 0
	s_delay_alu instid0(SALU_CYCLE_1)
	s_and_b32 vcc_lo, exec_lo, s3
	s_cbranch_vccnz .LBB2_5
; %bb.4:
	s_load_b32 s3, s[14:15], 0x0
	s_waitcnt lgkmcnt(0)
	v_cmp_neq_f32_e64 s3, s3, 1.0
.LBB2_5:
	s_delay_alu instid0(VALU_DEP_1)
	s_and_not1_b32 vcc_lo, exec_lo, s3
	s_cbranch_vccnz .LBB2_100
; %bb.6:
	s_load_b32 s3, s[0:1], 0xd10
	v_cvt_f32_f64_e32 v38, s[8:9]
	v_cvt_f32_f64_e32 v39, s[10:11]
	s_mov_b32 s8, 0x3e76c4e1
	s_mov_b32 s31, 0
	v_cvt_f32_f64_e32 v44, s[16:17]
	v_cvt_f32_f64_e32 v40, s[18:19]
	s_waitcnt lgkmcnt(0)
	s_bitcmp1_b32 s3, 0
	s_cselect_b32 s33, -1, 0
	s_and_b32 s2, s2, 0xff
	s_delay_alu instid0(SALU_CYCLE_1)
	s_lshl_b32 s30, s2, 3
	s_clause 0x1
	s_load_b64 s[2:3], s[0:1], s30 offset:0x5a0
	s_load_b64 s[28:29], s[0:1], s30 offset:0x4b0
	s_waitcnt lgkmcnt(0)
	s_load_b32 s7, s[2:3], 0x0
	s_delay_alu instid0(VALU_DEP_4) | instskip(NEXT) | instid1(VALU_DEP_4)
	v_cmp_eq_f32_e64 s3, 1.0, v38
	v_cmp_eq_f32_e64 s4, 1.0, v39
	s_clause 0x4
	s_load_b32 s26, s[20:21], 0x7d0
	s_load_b64 s[14:15], s[0:1], s30 offset:0x0
	s_load_b64 s[20:21], s[0:1], s30 offset:0xf0
	;; [unrolled: 1-line block ×4, first 2 shown]
	s_waitcnt lgkmcnt(0)
	v_cndmask_b32_e64 v5, s7, 1.0, s3
	v_cndmask_b32_e64 v6, s7, 1.0, s4
	s_ashr_i32 s27, s26, 31
	s_delay_alu instid0(VALU_DEP_2) | instskip(NEXT) | instid1(VALU_DEP_2)
	v_cmp_eq_f32_e64 s2, 0, v5
	v_cmp_eq_f32_e32 vcc_lo, 0, v6
	s_lshl_b64 s[34:35], s[26:27], 16
	s_delay_alu instid0(VALU_DEP_2) | instskip(SKIP_1) | instid1(VALU_DEP_2)
	v_cndmask_b32_e64 v7, |v38|, 1.0, s2
	v_cndmask_b32_e64 v8, |v39|, 1.0, vcc_lo
	v_frexp_mant_f32_e32 v1, v7
	s_delay_alu instid0(VALU_DEP_2) | instskip(SKIP_1) | instid1(VALU_DEP_3)
	v_frexp_mant_f32_e32 v2, v8
	v_cmp_eq_f32_e64 s10, 0x7f800000, v8
	v_cmp_gt_f32_e64 s5, 0x3f2aaaab, v1
	s_delay_alu instid0(VALU_DEP_3) | instskip(NEXT) | instid1(VALU_DEP_2)
	v_cmp_gt_f32_e64 s6, 0x3f2aaaab, v2
	v_cndmask_b32_e64 v3, 1.0, 2.0, s5
	s_delay_alu instid0(VALU_DEP_2) | instskip(NEXT) | instid1(VALU_DEP_1)
	v_cndmask_b32_e64 v4, 1.0, 2.0, s6
	v_dual_mul_f32 v1, v1, v3 :: v_dual_mul_f32 v2, v2, v4
	s_delay_alu instid0(VALU_DEP_1) | instskip(SKIP_1) | instid1(VALU_DEP_2)
	v_dual_add_f32 v3, 1.0, v1 :: v_dual_add_f32 v4, 1.0, v2
	v_dual_add_f32 v11, -1.0, v1 :: v_dual_add_f32 v12, -1.0, v2
	v_rcp_f32_e32 v9, v3
	s_delay_alu instid0(VALU_DEP_2) | instskip(SKIP_3) | instid1(VALU_DEP_2)
	v_rcp_f32_e32 v10, v4
	s_waitcnt_depctr 0xfff
	v_dual_mul_f32 v13, v11, v9 :: v_dual_mul_f32 v14, v12, v10
	v_add_f32_e32 v15, -1.0, v3
	v_dual_add_f32 v17, -1.0, v4 :: v_dual_mul_f32 v16, v3, v13
	s_delay_alu instid0(VALU_DEP_2) | instskip(NEXT) | instid1(VALU_DEP_2)
	v_dual_mul_f32 v18, v4, v14 :: v_dual_sub_f32 v1, v1, v15
	v_sub_f32_e32 v2, v2, v17
	s_delay_alu instid0(VALU_DEP_3) | instskip(NEXT) | instid1(VALU_DEP_3)
	v_fma_f32 v3, v13, v3, -v16
	v_fma_f32 v4, v14, v4, -v18
	s_delay_alu instid0(VALU_DEP_1) | instskip(NEXT) | instid1(VALU_DEP_1)
	v_dual_fmac_f32 v3, v13, v1 :: v_dual_fmac_f32 v4, v14, v2
	v_dual_add_f32 v1, v16, v3 :: v_dual_add_f32 v2, v18, v4
	s_delay_alu instid0(VALU_DEP_1) | instskip(NEXT) | instid1(VALU_DEP_2)
	v_dual_sub_f32 v15, v11, v1 :: v_dual_sub_f32 v16, v1, v16
	v_sub_f32_e32 v18, v2, v18
	v_sub_f32_e32 v17, v12, v2
	s_delay_alu instid0(VALU_DEP_2) | instskip(NEXT) | instid1(VALU_DEP_4)
	v_dual_sub_f32 v11, v11, v15 :: v_dual_sub_f32 v4, v18, v4
	v_sub_f32_e32 v3, v16, v3
	s_delay_alu instid0(VALU_DEP_2) | instskip(NEXT) | instid1(VALU_DEP_1)
	v_sub_f32_e32 v1, v11, v1
	v_add_f32_e32 v1, v3, v1
	s_delay_alu instid0(VALU_DEP_1) | instskip(NEXT) | instid1(VALU_DEP_1)
	v_add_f32_e32 v1, v15, v1
	v_mul_f32_e32 v9, v9, v1
	s_delay_alu instid0(VALU_DEP_1) | instskip(NEXT) | instid1(VALU_DEP_1)
	v_add_f32_e32 v11, v13, v9
	v_dual_sub_f32 v12, v12, v17 :: v_dual_mul_f32 v15, v11, v11
	s_delay_alu instid0(VALU_DEP_1) | instskip(NEXT) | instid1(VALU_DEP_1)
	v_sub_f32_e32 v2, v12, v2
	v_add_f32_e32 v2, v4, v2
	v_cvt_f64_f32_e32 v[3:4], v8
	s_delay_alu instid0(VALU_DEP_2) | instskip(NEXT) | instid1(VALU_DEP_1)
	v_add_f32_e32 v2, v17, v2
	v_mul_f32_e32 v10, v10, v2
	v_cvt_f64_f32_e32 v[1:2], v7
	s_delay_alu instid0(VALU_DEP_2) | instskip(NEXT) | instid1(VALU_DEP_1)
	v_add_f32_e32 v12, v14, v10
	v_dual_sub_f32 v14, v12, v14 :: v_dual_sub_f32 v13, v11, v13
	s_delay_alu instid0(VALU_DEP_1) | instskip(SKIP_1) | instid1(VALU_DEP_2)
	v_dual_sub_f32 v10, v10, v14 :: v_dual_sub_f32 v9, v9, v13
	v_fma_f32 v14, v11, v11, -v15
	v_dual_add_f32 v18, v10, v10 :: v_dual_mul_f32 v13, v12, v12
	s_delay_alu instid0(VALU_DEP_3) | instskip(NEXT) | instid1(VALU_DEP_2)
	v_add_f32_e32 v16, v9, v9
	v_fma_f32 v17, v12, v12, -v13
	s_delay_alu instid0(VALU_DEP_2) | instskip(SKIP_1) | instid1(VALU_DEP_3)
	v_fmac_f32_e32 v14, v11, v16
	v_frexp_exp_i32_f64_e32 v3, v[3:4]
	v_fmac_f32_e32 v17, v12, v18
	s_delay_alu instid0(VALU_DEP_1) | instskip(NEXT) | instid1(VALU_DEP_4)
	v_add_f32_e32 v18, v13, v17
	v_add_f32_e32 v16, v15, v14
	v_frexp_exp_i32_f64_e32 v1, v[1:2]
	s_delay_alu instid0(VALU_DEP_3) | instskip(NEXT) | instid1(VALU_DEP_3)
	v_sub_f32_e32 v13, v18, v13
	v_dual_fmaak_f32 v19, s8, v16, 0x3e91f4c4 :: v_dual_fmaak_f32 v20, s8, v18, 0x3e91f4c4
	v_sub_f32_e32 v15, v16, v15
	v_cmp_eq_f32_e64 s8, 0x7f800000, v7
	s_delay_alu instid0(VALU_DEP_3) | instskip(SKIP_1) | instid1(VALU_DEP_2)
	v_dual_fmaak_f32 v19, v16, v19, 0x3ecccdef :: v_dual_fmaak_f32 v2, v18, v20, 0x3ecccdef
	v_sub_f32_e32 v4, v17, v13
	v_dual_mul_f32 v20, v16, v19 :: v_dual_mul_f32 v21, v18, v2
	s_delay_alu instid0(VALU_DEP_1) | instskip(SKIP_1) | instid1(VALU_DEP_3)
	v_fma_f32 v13, v18, v2, -v21
	v_sub_f32_e32 v14, v14, v15
	v_fma_f32 v15, v16, v19, -v20
	s_delay_alu instid0(VALU_DEP_3) | instskip(NEXT) | instid1(VALU_DEP_2)
	v_fmac_f32_e32 v13, v4, v2
	v_dual_fmac_f32 v15, v14, v19 :: v_dual_mul_f32 v2, v11, v16
	s_delay_alu instid0(VALU_DEP_2) | instskip(NEXT) | instid1(VALU_DEP_2)
	v_dual_mul_f32 v19, v12, v18 :: v_dual_add_f32 v22, v21, v13
	v_add_f32_e32 v17, v20, v15
	s_delay_alu instid0(VALU_DEP_3) | instskip(NEXT) | instid1(VALU_DEP_3)
	v_fma_f32 v23, v16, v11, -v2
	v_fma_f32 v25, v18, v12, -v19
	s_delay_alu instid0(VALU_DEP_4) | instskip(NEXT) | instid1(VALU_DEP_4)
	v_dual_sub_f32 v21, v22, v21 :: v_dual_add_f32 v26, 0x3f2aaaaa, v22
	v_sub_f32_e32 v20, v17, v20
	v_add_f32_e32 v24, 0x3f2aaaaa, v17
	v_fmac_f32_e32 v23, v16, v9
	s_delay_alu instid0(VALU_DEP_4)
	v_sub_f32_e32 v13, v13, v21
	v_subrev_co_ci_u32_e64 v1, s5, 0, v1, s5
	v_sub_f32_e32 v15, v15, v20
	v_add_f32_e32 v20, 0xbf2aaaaa, v24
	v_add_f32_e32 v16, 0xbf2aaaaa, v26
	;; [unrolled: 1-line block ×3, first 2 shown]
	v_fmac_f32_e32 v23, v14, v11
	v_cvt_f32_i32_e32 v1, v1
	v_sub_f32_e32 v17, v17, v20
	v_dual_add_f32 v15, 0x31739010, v15 :: v_dual_sub_f32 v14, v22, v16
	v_subrev_co_ci_u32_e64 v3, s5, 0, v3, s6
	v_ldexp_f32 v9, v9, 1
	s_delay_alu instid0(VALU_DEP_3) | instskip(SKIP_3) | instid1(VALU_DEP_3)
	v_add_f32_e32 v15, v15, v17
	v_fmac_f32_e32 v25, v18, v10
	v_ldexp_f32 v10, v10, 1
	v_cmp_gt_f32_e64 s6, 0, v6
	v_dual_fmac_f32 v25, v4, v12 :: v_dual_add_f32 v4, v13, v14
	v_add_f32_e32 v14, v24, v15
	v_ldexp_f32 v12, v12, 1
	s_delay_alu instid0(VALU_DEP_3) | instskip(NEXT) | instid1(VALU_DEP_3)
	v_add_f32_e32 v16, v26, v4
	v_dual_add_f32 v13, v2, v23 :: v_dual_sub_f32 v18, v24, v14
	s_delay_alu instid0(VALU_DEP_1) | instskip(NEXT) | instid1(VALU_DEP_1)
	v_dual_mul_f32 v20, v13, v14 :: v_dual_add_f32 v17, v19, v25
	v_mul_f32_e32 v22, v17, v16
	v_dual_sub_f32 v2, v13, v2 :: v_dual_sub_f32 v21, v26, v16
	s_delay_alu instid0(VALU_DEP_1) | instskip(NEXT) | instid1(VALU_DEP_2)
	v_sub_f32_e32 v2, v23, v2
	v_dual_add_f32 v15, v15, v18 :: v_dual_add_f32 v4, v4, v21
	v_fma_f32 v18, v13, v14, -v20
	v_fma_f32 v21, v17, v16, -v22
	v_cndmask_b32_e64 v23, v39, 1.0, vcc_lo
	s_delay_alu instid0(VALU_DEP_3) | instskip(SKIP_1) | instid1(VALU_DEP_4)
	v_fmac_f32_e32 v18, v13, v15
	v_sub_f32_e32 v19, v17, v19
	v_fmac_f32_e32 v21, v17, v4
	v_ldexp_f32 v4, v11, 1
	s_delay_alu instid0(VALU_DEP_3) | instskip(SKIP_2) | instid1(VALU_DEP_3)
	v_dual_fmac_f32 v18, v2, v14 :: v_dual_sub_f32 v13, v25, v19
	v_cvt_f32_i32_e32 v2, v3
	v_mul_f32_e32 v3, 0x3f317218, v1
	v_fmac_f32_e32 v21, v13, v16
	s_delay_alu instid0(VALU_DEP_2) | instskip(NEXT) | instid1(VALU_DEP_2)
	v_fma_f32 v15, 0x3f317218, v1, -v3
	v_add_f32_e32 v14, v22, v21
	s_delay_alu instid0(VALU_DEP_1) | instskip(SKIP_1) | instid1(VALU_DEP_1)
	v_sub_f32_e32 v19, v14, v22
	v_add_f32_e32 v11, v20, v18
	v_dual_sub_f32 v17, v11, v20 :: v_dual_add_f32 v20, v12, v14
	s_delay_alu instid0(VALU_DEP_1) | instskip(NEXT) | instid1(VALU_DEP_4)
	v_dual_sub_f32 v17, v18, v17 :: v_dual_sub_f32 v12, v20, v12
	v_sub_f32_e32 v18, v21, v19
	v_dual_add_f32 v16, v4, v11 :: v_dual_mul_f32 v13, 0x3f317218, v2
	s_delay_alu instid0(VALU_DEP_2) | instskip(NEXT) | instid1(VALU_DEP_2)
	v_add_f32_e32 v10, v10, v18
	v_sub_f32_e32 v4, v16, v4
	s_delay_alu instid0(VALU_DEP_1) | instskip(NEXT) | instid1(VALU_DEP_4)
	v_sub_f32_e32 v4, v11, v4
	v_fma_f32 v11, 0x3f317218, v2, -v13
	v_fmac_f32_e32 v15, 0xb102e308, v1
	v_add_f32_e32 v9, v9, v17
	s_delay_alu instid0(VALU_DEP_2) | instskip(NEXT) | instid1(VALU_DEP_2)
	v_dual_fmac_f32 v11, 0xb102e308, v2 :: v_dual_add_f32 v2, v3, v15
	v_add_f32_e32 v4, v9, v4
	v_sub_f32_e32 v1, v14, v12
	s_delay_alu instid0(VALU_DEP_3) | instskip(NEXT) | instid1(VALU_DEP_3)
	v_sub_f32_e32 v3, v2, v3
	v_add_f32_e32 v9, v16, v4
	s_delay_alu instid0(VALU_DEP_1) | instskip(NEXT) | instid1(VALU_DEP_1)
	v_dual_sub_f32 v3, v15, v3 :: v_dual_add_f32 v14, v2, v9
	v_dual_sub_f32 v18, v14, v2 :: v_dual_sub_f32 v15, v9, v16
	s_delay_alu instid0(VALU_DEP_1) | instskip(NEXT) | instid1(VALU_DEP_2)
	v_sub_f32_e32 v16, v14, v18
	v_dual_add_f32 v1, v10, v1 :: v_dual_sub_f32 v4, v4, v15
	s_delay_alu instid0(VALU_DEP_2) | instskip(NEXT) | instid1(VALU_DEP_2)
	v_dual_sub_f32 v9, v9, v18 :: v_dual_sub_f32 v2, v2, v16
	v_add_f32_e32 v12, v20, v1
	v_add_f32_e32 v10, v13, v11
	s_delay_alu instid0(VALU_DEP_4) | instskip(NEXT) | instid1(VALU_DEP_2)
	v_add_f32_e32 v16, v3, v4
	v_dual_add_f32 v2, v9, v2 :: v_dual_sub_f32 v13, v10, v13
	s_delay_alu instid0(VALU_DEP_1) | instskip(NEXT) | instid1(VALU_DEP_2)
	v_dual_add_f32 v17, v10, v12 :: v_dual_add_f32 v2, v16, v2
	v_sub_f32_e32 v11, v11, v13
	s_delay_alu instid0(VALU_DEP_2) | instskip(NEXT) | instid1(VALU_DEP_1)
	v_sub_f32_e32 v13, v17, v10
	v_sub_f32_e32 v15, v17, v13
	s_delay_alu instid0(VALU_DEP_1) | instskip(NEXT) | instid1(VALU_DEP_1)
	v_dual_sub_f32 v10, v10, v15 :: v_dual_sub_f32 v19, v12, v20
	v_dual_sub_f32 v12, v12, v13 :: v_dual_sub_f32 v1, v1, v19
	s_delay_alu instid0(VALU_DEP_1) | instskip(SKIP_1) | instid1(VALU_DEP_1)
	v_dual_add_f32 v10, v12, v10 :: v_dual_add_f32 v9, v11, v1
	v_sub_f32_e32 v13, v16, v3
	v_dual_sub_f32 v15, v16, v13 :: v_dual_add_f32 v16, v14, v2
	s_delay_alu instid0(VALU_DEP_3) | instskip(NEXT) | instid1(VALU_DEP_4)
	v_sub_f32_e32 v12, v9, v11
	v_add_f32_e32 v10, v9, v10
	v_sub_f32_e32 v4, v4, v13
	s_delay_alu instid0(VALU_DEP_3) | instskip(NEXT) | instid1(VALU_DEP_3)
	v_dual_sub_f32 v14, v16, v14 :: v_dual_sub_f32 v1, v1, v12
	v_add_f32_e32 v13, v17, v10
	s_delay_alu instid0(VALU_DEP_2) | instskip(SKIP_2) | instid1(VALU_DEP_2)
	v_dual_sub_f32 v9, v9, v12 :: v_dual_sub_f32 v2, v2, v14
	v_sub_f32_e32 v3, v3, v15
	v_mul_f32_e32 v15, 0.5, v5
	v_add_f32_e32 v3, v4, v3
	s_delay_alu instid0(VALU_DEP_1) | instskip(NEXT) | instid1(VALU_DEP_1)
	v_add_f32_e32 v2, v3, v2
	v_add_f32_e32 v3, v16, v2
	v_sub_f32_e32 v9, v11, v9
	v_trunc_f32_e32 v11, v5
	s_delay_alu instid0(VALU_DEP_3)
	v_mul_f32_e32 v14, v5, v3
	v_sub_f32_e32 v12, v3, v16
	v_sub_f32_e32 v4, v13, v17
	v_add_f32_e32 v1, v1, v9
	v_cndmask_b32_e64 v9, |s7|, 1.0, s4
	v_cmp_gt_f32_e64 s4, 0, v5
	s_delay_alu instid0(VALU_DEP_4) | instskip(NEXT) | instid1(VALU_DEP_3)
	v_sub_f32_e32 v4, v10, v4
	v_cmp_neq_f32_e64 s5, v6, v9
	s_delay_alu instid0(VALU_DEP_2)
	v_add_f32_e32 v1, v1, v4
	v_sub_f32_e32 v2, v2, v12
	v_fma_f32 v3, v5, v3, -v14
	v_cndmask_b32_e64 v4, |s7|, 1.0, s3
	v_mul_f32_e32 v12, 0.5, v6
	v_add_f32_e32 v10, v13, v1
	s_delay_alu instid0(VALU_DEP_3) | instskip(NEXT) | instid1(VALU_DEP_2)
	v_cmp_neq_f32_e64 s3, v5, v4
	v_mul_f32_e32 v16, v6, v10
	v_sub_f32_e32 v13, v10, v13
	s_delay_alu instid0(VALU_DEP_2) | instskip(NEXT) | instid1(VALU_DEP_2)
	v_fma_f32 v10, v6, v10, -v16
	v_sub_f32_e32 v1, v1, v13
	v_fmac_f32_e32 v3, v5, v2
	v_cmp_class_f32_e64 s7, v16, 0x204
	v_cndmask_b32_e64 v13, v38, 1.0, s2
	v_cmp_class_f32_e64 s2, v14, 0x204
	v_fmac_f32_e32 v10, v6, v1
	v_trunc_f32_e32 v2, v6
	s_delay_alu instid0(VALU_DEP_2) | instskip(NEXT) | instid1(VALU_DEP_2)
	v_add_f32_e32 v17, v16, v10
	v_cmp_eq_f32_e32 vcc_lo, v2, v6
	v_trunc_f32_e32 v2, v12
	s_delay_alu instid0(VALU_DEP_3) | instskip(NEXT) | instid1(VALU_DEP_1)
	v_cndmask_b32_e64 v19, v17, v16, s7
	v_cmp_eq_f32_e64 s9, 0x42b17218, v19
	s_delay_alu instid0(VALU_DEP_1) | instskip(SKIP_2) | instid1(VALU_DEP_3)
	v_cndmask_b32_e64 v21, 0, 0x37000000, s9
	v_add_f32_e32 v1, v14, v3
	v_cmp_gt_f32_e64 s9, 1.0, v8
	v_sub_f32_e32 v24, v19, v21
	s_delay_alu instid0(VALU_DEP_3)
	v_cndmask_b32_e64 v18, v1, v14, s2
	v_cmp_eq_f32_e64 s2, v11, v5
	v_trunc_f32_e32 v11, v15
	v_sub_f32_e32 v1, v1, v14
	s_xor_b32 s5, s5, s9
	v_cmp_eq_f32_e64 s7, 0x42b17218, v18
	v_cmp_neq_f32_e64 s9, 0x7f800000, |v18|
	v_cmp_neq_f32_e64 s11, v11, v15
	v_sub_f32_e32 v1, v3, v1
	s_delay_alu instid0(VALU_DEP_4) | instskip(SKIP_1) | instid1(VALU_DEP_3)
	v_cndmask_b32_e64 v20, 0, 0x37000000, s7
	v_cmp_gt_f32_e64 s7, 1.0, v7
	v_cndmask_b32_e64 v1, 0, v1, s9
	v_cmp_neq_f32_e64 s9, 0x7f800000, |v19|
	s_delay_alu instid0(VALU_DEP_4) | instskip(NEXT) | instid1(VALU_DEP_4)
	v_sub_f32_e32 v22, v18, v20
	s_xor_b32 s3, s3, s7
	v_cmp_neq_f32_e64 s7, v2, v12
	v_cndmask_b32_e64 v27, v4, 0, s3
	v_add_f32_e32 v1, v20, v1
	v_mul_f32_e32 v25, 0x3fb8aa3b, v22
	v_cmp_eq_f32_e64 s3, 0, v13
	s_and_b32 s7, vcc_lo, s7
	v_cndmask_b32_e64 v12, v9, 0, s5
	v_cmp_eq_f32_e64 s5, 0, v23
	v_fma_f32 v15, 0x3fb8aa3b, v22, -v25
	v_rndne_f32_e32 v26, v25
	s_xor_b32 s4, s4, s3
	s_delay_alu instid0(VALU_DEP_2) | instskip(NEXT) | instid1(VALU_DEP_2)
	v_fmac_f32_e32 v15, 0x32a5705f, v22
	v_sub_f32_e32 v25, v25, v26
	v_cvt_i32_f32_e32 v3, v26
	s_delay_alu instid0(VALU_DEP_2) | instskip(SKIP_2) | instid1(VALU_DEP_3)
	v_add_f32_e32 v2, v25, v15
	v_sub_f32_e32 v14, v17, v16
	v_mul_f32_e32 v11, 0x3fb8aa3b, v24
	v_exp_f32_e32 v2, v2
	s_delay_alu instid0(VALU_DEP_2) | instskip(NEXT) | instid1(VALU_DEP_2)
	v_sub_f32_e32 v10, v10, v14
	v_fma_f32 v28, 0x3fb8aa3b, v24, -v11
	v_rndne_f32_e32 v29, v11
	s_delay_alu instid0(VALU_DEP_1)
	v_dual_fmac_f32 v28, 0x32a5705f, v24 :: v_dual_sub_f32 v11, v11, v29
	v_cvt_i32_f32_e32 v14, v29
	s_waitcnt_depctr 0xfff
	v_ldexp_f32 v2, v2, v3
	v_cndmask_b32_e64 v3, 0, v10, s9
	v_cmp_ngt_f32_e64 s9, 0xc2ce8ed0, v22
	v_add_f32_e32 v11, v11, v28
	s_delay_alu instid0(VALU_DEP_3) | instskip(NEXT) | instid1(VALU_DEP_3)
	v_add_f32_e32 v3, v21, v3
	v_cndmask_b32_e64 v2, 0, v2, s9
	s_delay_alu instid0(VALU_DEP_3) | instskip(SKIP_4) | instid1(VALU_DEP_2)
	v_exp_f32_e32 v11, v11
	v_cmp_ngt_f32_e64 s9, 0xc2ce8ed0, v24
	s_waitcnt_depctr 0xfff
	v_ldexp_f32 v10, v11, v14
	v_cndmask_b32_e64 v14, 1.0, v23, s7
	v_cndmask_b32_e64 v10, 0, v10, s9
	v_cmp_nlt_f32_e64 s9, 0x42b17218, v22
	s_delay_alu instid0(VALU_DEP_1) | instskip(SKIP_1) | instid1(VALU_DEP_2)
	v_cndmask_b32_e64 v2, 0x7f800000, v2, s9
	v_cmp_nlt_f32_e64 s9, 0x42b17218, v24
	v_fma_f32 v1, v2, v1, v2
	s_delay_alu instid0(VALU_DEP_2) | instskip(SKIP_3) | instid1(VALU_DEP_3)
	v_cndmask_b32_e64 v10, 0x7f800000, v10, s9
	s_and_b32 s9, s2, s11
	v_cmp_eq_f32_e64 s11, 1.0, v7
	v_cndmask_b32_e64 v11, 1.0, v13, s9
	v_fma_f32 v3, v10, v3, v10
	s_delay_alu instid0(VALU_DEP_3) | instskip(SKIP_1) | instid1(VALU_DEP_1)
	v_cndmask_b32_e64 v7, v27, v7, s11
	v_cmp_class_f32_e64 s11, v10, 0x204
	v_cndmask_b32_e64 v3, v3, v10, s11
	v_cmp_class_f32_e64 s11, v2, 0x204
	s_delay_alu instid0(VALU_DEP_2) | instskip(NEXT) | instid1(VALU_DEP_2)
	v_bfi_b32 v3, 0x7fffffff, v3, v14
	v_cndmask_b32_e64 v1, v1, v2, s11
	v_cndmask_b32_e64 v2, 0x7f800000, 0, s4
	v_cmp_eq_f32_e64 s4, 1.0, v8
	v_cndmask_b32_e64 v14, 0, v13, s9
	s_delay_alu instid0(VALU_DEP_4)
	v_bfi_b32 v1, 0x7fffffff, v1, v11
	v_cndmask_b32_e32 v11, 0x7fc00000, v3, vcc_lo
	v_cmp_gt_f32_e32 vcc_lo, 0, v23
	v_cndmask_b32_e64 v8, v12, v8, s4
	s_xor_b32 s4, s6, s5
	v_cndmask_b32_e64 v15, 0x7fc00000, v1, s2
	v_cndmask_b32_e64 v10, 0x7f800000, 0, s4
	v_cndmask_b32_e32 v3, v3, v11, vcc_lo
	v_cmp_gt_f32_e32 vcc_lo, 0, v13
	v_cndmask_b32_e64 v12, 0, v23, s7
	v_cmp_o_f32_e64 s2, v23, v6
	v_bfi_b32 v2, 0x7fffffff, v2, v14
	v_cndmask_b32_e32 v1, v1, v15, vcc_lo
	v_cmp_eq_f32_e32 vcc_lo, 0x7f800000, v9
	v_bfi_b32 v10, 0x7fffffff, v10, v12
	v_cndmask_b32_e32 v3, v3, v8, vcc_lo
	v_cmp_eq_f32_e32 vcc_lo, 0x7f800000, v4
	v_cndmask_b32_e32 v1, v1, v7, vcc_lo
	s_or_b32 vcc_lo, s10, s5
	s_delay_alu instid0(VALU_DEP_3)
	v_cndmask_b32_e32 v3, v3, v10, vcc_lo
	s_or_b32 vcc_lo, s8, s3
	s_sub_u32 s6, s28, s34
	s_subb_u32 s7, s29, s35
	s_lshl_b64 s[8:9], s[26:27], 18
	v_sub_f32_e32 v3, 1.0, v3
	s_load_b64 s[26:27], s[0:1], s30 offset:0x2d0
	s_add_u32 s10, s14, s8
	s_addc_u32 s11, s15, s9
	s_and_b32 s4, s10, 15
	v_cndmask_b32_e64 v3, 0x7fc00000, v3, s2
	s_add_u32 s29, s20, s8
	s_addc_u32 s34, s21, s9
	s_and_b32 s30, s29, 15
	s_delay_alu instid0(VALU_DEP_1)
	v_dual_cndmask_b32 v1, v1, v2 :: v_dual_mul_f32 v4, 0x4f800000, v3
	v_cmp_gt_f32_e64 s2, 0xf800000, v3
	s_cmp_lg_u64 s[30:31], 0
	v_cmp_o_f32_e32 vcc_lo, v13, v5
	s_cselect_b32 s5, -1, 0
	s_add_u32 s35, s24, s8
	v_cndmask_b32_e64 v3, v3, v4, s2
	s_addc_u32 s36, s25, s9
	s_and_b32 s30, s35, 15
	v_sub_f32_e32 v1, 1.0, v1
	s_cmp_lg_u64 s[30:31], 0
	v_sqrt_f32_e32 v4, v3
	s_cselect_b32 s30, -1, 0
	s_waitcnt lgkmcnt(0)
	s_add_u32 s16, s26, s8
	s_addc_u32 s17, s27, s9
	s_add_u32 s18, s22, s8
	s_addc_u32 s19, s23, s9
	s_or_b32 s3, s18, s16
	v_cndmask_b32_e32 v43, 0x7fc00000, v1, vcc_lo
	s_and_b32 s3, s3, 15
	v_cmp_class_f32_e64 vcc_lo, v3, 0x260
	s_waitcnt_depctr 0xfff
	v_add_nc_u32_e32 v6, -1, v4
	v_add_nc_u32_e32 v7, 1, v4
	s_cmp_lg_u32 s3, 0
	s_cselect_b32 s37, -1, 0
	s_delay_alu instid0(VALU_DEP_2) | instskip(NEXT) | instid1(VALU_DEP_2)
	v_fma_f32 v8, -v6, v4, v3
	v_fma_f32 v9, -v7, v4, v3
	s_delay_alu instid0(VALU_DEP_2) | instskip(NEXT) | instid1(VALU_DEP_1)
	v_cmp_ge_f32_e64 s3, 0, v8
	v_cndmask_b32_e64 v4, v4, v6, s3
	s_and_b32 s3, s28, 3
	s_or_b32 s28, s37, s30
	s_or_b32 s30, s4, s3
	v_cmp_lt_f32_e64 s3, 0, v9
	s_delay_alu instid0(VALU_DEP_1) | instskip(SKIP_3) | instid1(VALU_DEP_1)
	v_cndmask_b32_e64 v4, v4, v7, s3
	s_or_b32 s3, s28, s5
	s_cmp_lg_u64 s[30:31], 0
	s_cselect_b32 s4, -1, 0
	v_mul_f32_e32 v2, 0x37800000, v4
	s_or_b32 s3, s3, s4
	s_delay_alu instid0(VALU_DEP_1) | instskip(SKIP_1) | instid1(VALU_DEP_1)
	v_cndmask_b32_e64 v2, v4, v2, s2
	s_mov_b32 s2, -1
	v_cndmask_b32_e32 v41, v2, v3, vcc_lo
	s_and_not1_b32 vcc_lo, exec_lo, s3
	s_cbranch_vccz .LBB2_22
; %bb.7:
	v_dual_mov_b32 v25, 0 :: v_dual_lshlrev_b32 v24, 2, v0
	s_mov_b32 s28, exec_lo
	s_delay_alu instid0(VALU_DEP_1)
	v_cmpx_gt_i64_e64 s[6:7], v[24:25]
	s_cbranch_execz .LBB2_21
; %bb.8:
	v_div_scale_f32 v1, null, v43, v43, v42
	s_load_b32 s3, s[0:1], 0xd34
	v_div_scale_f32 v4, vcc_lo, v42, v43, v42
	s_delay_alu instid0(VALU_DEP_2)
	v_rcp_f32_e32 v2, v1
	s_cmp_lg_u64 s[12:13], 0
	v_cmp_neq_f32_e64 s2, 0, v44
	s_cselect_b32 s30, -1, 0
	v_mul_f32_e32 v45, v42, v44
	v_lshlrev_b32_e32 v46, 4, v0
	s_waitcnt_depctr 0xfff
	v_fma_f32 v3, -v1, v2, 1.0
	s_delay_alu instid0(VALU_DEP_1) | instskip(SKIP_2) | instid1(SALU_CYCLE_1)
	v_fmac_f32_e32 v2, v3, v2
	s_waitcnt lgkmcnt(0)
	s_and_b32 s3, s3, 0xffff
	v_add_lshl_u32 v24, v0, s3, 2
	s_delay_alu instid0(VALU_DEP_2)
	v_mul_f32_e32 v3, v4, v2
	v_mov_b32_e32 v27, v25
	s_lshl_b32 s37, s3, 2
	s_lshl_b32 s38, s3, 4
	v_mov_b32_e32 v26, v24
	v_fma_f32 v5, -v1, v3, v4
	s_delay_alu instid0(VALU_DEP_1) | instskip(NEXT) | instid1(VALU_DEP_1)
	v_fmac_f32_e32 v3, v5, v2
	v_fma_f32 v1, -v1, v3, v4
	s_delay_alu instid0(VALU_DEP_1) | instskip(NEXT) | instid1(VALU_DEP_1)
	v_div_fmas_f32 v1, v1, v2, v3
	v_div_fixup_f32 v47, v1, v43, v42
	s_branch .LBB2_10
.LBB2_9:                                ;   in Loop: Header=BB2_10 Depth=1
	v_cmp_le_i64_e32 vcc_lo, s[6:7], v[26:27]
	v_cmp_lt_u64_e64 s3, 0xffff, v[26:27]
	global_store_b128 v[28:29], v[21:24], off
	global_store_b128 v[30:31], v[13:16], off
	;; [unrolled: 1-line block ×3, first 2 shown]
	s_or_b32 s3, vcc_lo, s3
	s_add_u32 s10, s10, s38
	s_addc_u32 s11, s11, 0
	s_add_u32 s18, s18, s38
	s_addc_u32 s19, s19, 0
	;; [unrolled: 2-line block ×3, first 2 shown]
	s_add_u32 s16, s16, s38
	v_add_co_u32 v26, vcc_lo, v26, s37
	s_addc_u32 s17, s17, 0
	s_add_u32 s35, s35, s38
	v_add_co_ci_u32_e32 v27, vcc_lo, 0, v27, vcc_lo
	s_addc_u32 s36, s36, 0
	s_and_b32 s3, exec_lo, s3
	s_delay_alu instid0(SALU_CYCLE_1) | instskip(NEXT) | instid1(SALU_CYCLE_1)
	s_or_b32 s31, s3, s31
	s_and_not1_b32 exec_lo, exec_lo, s31
	s_cbranch_execz .LBB2_21
.LBB2_10:                               ; =>This Inner Loop Header: Depth=1
	v_add_co_u32 v36, s3, s10, v46
	s_delay_alu instid0(VALU_DEP_1) | instskip(SKIP_1) | instid1(VALU_DEP_1)
	v_add_co_ci_u32_e64 v37, null, s11, 0, s3
	v_add_co_u32 v34, s3, s29, v46
	v_add_co_ci_u32_e64 v35, null, s34, 0, s3
	v_add_co_u32 v28, s3, s35, v46
	s_delay_alu instid0(VALU_DEP_1) | instskip(SKIP_1) | instid1(VALU_DEP_1)
	v_add_co_ci_u32_e64 v29, null, s36, 0, s3
	v_add_co_u32 v30, s3, s16, v46
	v_add_co_ci_u32_e64 v31, null, s17, 0, s3
	v_add_co_u32 v32, s3, s18, v46
	s_delay_alu instid0(VALU_DEP_1)
	v_add_co_ci_u32_e64 v33, null, s19, 0, s3
	global_load_b128 v[5:8], v[36:37], off
	global_load_b128 v[1:4], v[34:35], off
	;; [unrolled: 1-line block ×5, first 2 shown]
	s_and_not1_b32 vcc_lo, exec_lo, s30
	s_cbranch_vccnz .LBB2_12
; %bb.11:                               ;   in Loop: Header=BB2_10 Depth=1
	global_load_b32 v13, v25, s[12:13]
	s_waitcnt vmcnt(0)
	v_div_scale_f32 v14, null, v13, v13, v1
	s_delay_alu instid0(VALU_DEP_1) | instskip(SKIP_2) | instid1(VALU_DEP_1)
	v_rcp_f32_e32 v15, v14
	s_waitcnt_depctr 0xfff
	v_fma_f32 v16, -v14, v15, 1.0
	v_fmac_f32_e32 v15, v16, v15
	v_div_scale_f32 v16, vcc_lo, v1, v13, v1
	s_delay_alu instid0(VALU_DEP_1) | instskip(NEXT) | instid1(VALU_DEP_1)
	v_mul_f32_e32 v48, v16, v15
	v_fma_f32 v49, -v14, v48, v16
	s_delay_alu instid0(VALU_DEP_1) | instskip(NEXT) | instid1(VALU_DEP_1)
	v_fmac_f32_e32 v48, v49, v15
	v_fma_f32 v14, -v14, v48, v16
	s_delay_alu instid0(VALU_DEP_1) | instskip(NEXT) | instid1(VALU_DEP_1)
	v_div_fmas_f32 v14, v14, v15, v48
	v_div_fixup_f32 v1, v14, v13, v1
.LBB2_12:                               ;   in Loop: Header=BB2_10 Depth=1
	s_and_not1_b32 vcc_lo, exec_lo, s30
	s_cbranch_vccnz .LBB2_14
; %bb.13:                               ;   in Loop: Header=BB2_10 Depth=1
	global_load_b32 v13, v25, s[12:13]
	s_waitcnt vmcnt(0)
	v_div_scale_f32 v14, null, v13, v13, v2
	s_delay_alu instid0(VALU_DEP_1) | instskip(SKIP_2) | instid1(VALU_DEP_1)
	v_rcp_f32_e32 v15, v14
	s_waitcnt_depctr 0xfff
	v_fma_f32 v16, -v14, v15, 1.0
	v_fmac_f32_e32 v15, v16, v15
	v_div_scale_f32 v16, vcc_lo, v2, v13, v2
	s_delay_alu instid0(VALU_DEP_1) | instskip(NEXT) | instid1(VALU_DEP_1)
	v_mul_f32_e32 v48, v16, v15
	v_fma_f32 v49, -v14, v48, v16
	s_delay_alu instid0(VALU_DEP_1) | instskip(NEXT) | instid1(VALU_DEP_1)
	v_fmac_f32_e32 v48, v49, v15
	v_fma_f32 v14, -v14, v48, v16
	s_delay_alu instid0(VALU_DEP_1) | instskip(NEXT) | instid1(VALU_DEP_1)
	v_div_fmas_f32 v14, v14, v15, v48
	v_div_fixup_f32 v2, v14, v13, v2
.LBB2_14:                               ;   in Loop: Header=BB2_10 Depth=1
	;; [unrolled: 22-line block ×4, first 2 shown]
	s_waitcnt vmcnt(3)
	s_delay_alu instid0(VALU_DEP_1)
	v_cndmask_b32_e64 v13, v3, -v3, s33
	s_waitcnt vmcnt(0)
	v_max_f32_e32 v22, v22, v22
	v_cndmask_b32_e64 v57, v1, -v1, s33
	v_cndmask_b32_e64 v60, v4, -v4, s33
	v_mul_f32_e32 v14, v13, v13
	s_delay_alu instid0(VALU_DEP_1) | instskip(SKIP_1) | instid1(VALU_DEP_2)
	v_fma_f32 v15, -v39, v14, v14
	v_max_f32_e32 v14, v23, v23
	v_fmac_f32_e32 v15, v39, v19
	s_delay_alu instid0(VALU_DEP_1) | instskip(NEXT) | instid1(VALU_DEP_1)
	v_max_f32_e32 v19, v14, v15
	v_mul_f32_e32 v14, 0x4f800000, v19
	v_cmp_gt_f32_e32 vcc_lo, 0xf800000, v19
	s_delay_alu instid0(VALU_DEP_2) | instskip(NEXT) | instid1(VALU_DEP_1)
	v_cndmask_b32_e32 v16, v19, v14, vcc_lo
	v_sqrt_f32_e32 v14, v16
	s_waitcnt_depctr 0xfff
	v_add_nc_u32_e32 v23, -1, v14
	v_add_nc_u32_e32 v48, 1, v14
	s_delay_alu instid0(VALU_DEP_2) | instskip(NEXT) | instid1(VALU_DEP_2)
	v_fma_f32 v49, -v23, v14, v16
	v_fma_f32 v50, -v48, v14, v16
	s_delay_alu instid0(VALU_DEP_2) | instskip(NEXT) | instid1(VALU_DEP_1)
	v_cmp_ge_f32_e64 s3, 0, v49
	v_cndmask_b32_e64 v14, v14, v23, s3
	s_delay_alu instid0(VALU_DEP_3) | instskip(NEXT) | instid1(VALU_DEP_1)
	v_cmp_lt_f32_e64 s3, 0, v50
	v_cndmask_b32_e64 v14, v14, v48, s3
	v_cndmask_b32_e64 v48, v2, -v2, s33
	s_delay_alu instid0(VALU_DEP_2) | instskip(NEXT) | instid1(VALU_DEP_2)
	v_mul_f32_e32 v23, 0x37800000, v14
	v_mul_f32_e32 v49, v48, v48
	s_delay_alu instid0(VALU_DEP_2) | instskip(NEXT) | instid1(VALU_DEP_2)
	v_cndmask_b32_e32 v23, v14, v23, vcc_lo
	v_fma_f32 v14, -v39, v49, v49
	v_cmp_class_f32_e64 vcc_lo, v16, 0x260
	s_delay_alu instid0(VALU_DEP_2) | instskip(NEXT) | instid1(VALU_DEP_4)
	v_fmac_f32_e32 v14, v39, v18
	v_cndmask_b32_e32 v16, v23, v16, vcc_lo
	s_delay_alu instid0(VALU_DEP_2) | instskip(NEXT) | instid1(VALU_DEP_2)
	v_max_f32_e32 v18, v22, v14
	v_div_scale_f32 v49, null, v41, v41, v16
	v_div_scale_f32 v52, vcc_lo, v16, v41, v16
	s_delay_alu instid0(VALU_DEP_3) | instskip(SKIP_1) | instid1(VALU_DEP_4)
	v_mul_f32_e32 v23, 0x4f800000, v18
	v_cmp_gt_f32_e64 s3, 0xf800000, v18
	v_rcp_f32_e32 v22, v49
	s_delay_alu instid0(VALU_DEP_1) | instskip(NEXT) | instid1(VALU_DEP_1)
	v_cndmask_b32_e64 v50, v18, v23, s3
	v_sqrt_f32_e32 v51, v50
	s_waitcnt_depctr 0xfff
	v_fma_f32 v23, -v49, v22, 1.0
	s_delay_alu instid0(VALU_DEP_1) | instskip(SKIP_1) | instid1(VALU_DEP_2)
	v_dual_fmac_f32 v22, v23, v22 :: v_dual_add_nc_u32 v23, -1, v51
	v_add_nc_u32_e32 v54, 1, v51
	v_fma_f32 v56, -v23, v51, v50
	s_delay_alu instid0(VALU_DEP_2) | instskip(NEXT) | instid1(VALU_DEP_2)
	v_fma_f32 v58, -v54, v51, v50
	v_cmp_ge_f32_e64 s4, 0, v56
	s_delay_alu instid0(VALU_DEP_1) | instskip(SKIP_3) | instid1(VALU_DEP_3)
	v_cndmask_b32_e64 v51, v51, v23, s4
	v_fma_f32 v23, -v38, v13, v13
	v_mul_f32_e32 v13, v57, v57
	v_cmp_lt_f32_e64 s4, 0, v58
	v_fmac_f32_e32 v23, v38, v11
	v_mul_f32_e32 v53, v52, v22
	s_delay_alu instid0(VALU_DEP_4) | instskip(NEXT) | instid1(VALU_DEP_4)
	v_fma_f32 v13, -v39, v13, v13
	v_cndmask_b32_e64 v51, v51, v54, s4
	s_delay_alu instid0(VALU_DEP_3) | instskip(NEXT) | instid1(VALU_DEP_3)
	v_fma_f32 v55, -v49, v53, v52
	v_fmac_f32_e32 v13, v39, v17
	s_delay_alu instid0(VALU_DEP_2) | instskip(NEXT) | instid1(VALU_DEP_1)
	v_fmac_f32_e32 v53, v55, v22
	v_fma_f32 v49, -v49, v53, v52
	s_delay_alu instid0(VALU_DEP_1) | instskip(SKIP_2) | instid1(VALU_DEP_3)
	v_div_fmas_f32 v22, v49, v22, v53
	v_mul_f32_e32 v49, 0x37800000, v51
	v_cmp_class_f32_e64 vcc_lo, v50, 0x260
	v_div_fixup_f32 v11, v22, v41, v16
	v_max_f32_e32 v16, v21, v21
	s_delay_alu instid0(VALU_DEP_4) | instskip(SKIP_1) | instid1(VALU_DEP_3)
	v_cndmask_b32_e64 v21, v51, v49, s3
	v_mul_f32_e32 v49, v47, v23
	v_max_f32_e32 v17, v16, v13
	s_delay_alu instid0(VALU_DEP_1) | instskip(SKIP_1) | instid1(VALU_DEP_2)
	v_dual_cndmask_b32 v21, v21, v50 :: v_dual_mul_f32 v22, 0x4f800000, v17
	v_cmp_gt_f32_e64 s3, 0xf800000, v17
	v_div_scale_f32 v50, null, v41, v41, v21
	s_delay_alu instid0(VALU_DEP_2) | instskip(NEXT) | instid1(VALU_DEP_2)
	v_cndmask_b32_e64 v53, v17, v22, s3
	v_rcp_f32_e32 v52, v50
	s_delay_alu instid0(VALU_DEP_1) | instskip(SKIP_4) | instid1(VALU_DEP_3)
	v_sqrt_f32_e32 v54, v53
	s_waitcnt_depctr 0xfff
	v_fma_f32 v55, -v50, v52, 1.0
	v_add_nc_u32_e32 v59, -1, v54
	v_add_nc_u32_e32 v62, 1, v54
	v_fmac_f32_e32 v52, v55, v52
	v_div_scale_f32 v58, s4, v21, v41, v21
	s_delay_alu instid0(VALU_DEP_4) | instskip(NEXT) | instid1(VALU_DEP_4)
	v_fma_f32 v64, -v59, v54, v53
	v_fma_f32 v65, -v62, v54, v53
	s_delay_alu instid0(VALU_DEP_3) | instskip(NEXT) | instid1(VALU_DEP_3)
	v_mul_f32_e32 v61, v58, v52
	v_cmp_ge_f32_e64 s5, 0, v64
	s_delay_alu instid0(VALU_DEP_1) | instskip(NEXT) | instid1(VALU_DEP_4)
	v_cndmask_b32_e64 v54, v54, v59, s5
	v_cmp_lt_f32_e64 s5, 0, v65
	s_delay_alu instid0(VALU_DEP_1) | instskip(SKIP_1) | instid1(VALU_DEP_1)
	v_cndmask_b32_e64 v54, v54, v62, s5
	v_add_f32_e32 v11, v11, v40
	v_div_scale_f32 v16, null, v11, v11, v49
	s_delay_alu instid0(VALU_DEP_1) | instskip(SKIP_2) | instid1(VALU_DEP_1)
	v_rcp_f32_e32 v51, v16
	s_waitcnt_depctr 0xfff
	v_fma_f32 v22, -v16, v51, 1.0
	v_fmac_f32_e32 v51, v22, v51
	v_fma_f32 v22, -v38, v48, v48
	v_fma_f32 v48, -v50, v61, v58
	s_delay_alu instid0(VALU_DEP_1) | instskip(SKIP_2) | instid1(VALU_DEP_3)
	v_dual_fmac_f32 v22, v38, v10 :: v_dual_fmac_f32 v61, v48, v52
	v_mul_f32_e32 v48, v60, v60
	v_div_scale_f32 v56, vcc_lo, v49, v11, v49
	v_fma_f32 v50, -v50, v61, v58
	s_delay_alu instid0(VALU_DEP_2) | instskip(NEXT) | instid1(VALU_DEP_1)
	v_mul_f32_e32 v55, v56, v51
	v_fma_f32 v63, -v16, v55, v56
	s_delay_alu instid0(VALU_DEP_1) | instskip(NEXT) | instid1(VALU_DEP_1)
	v_fmac_f32_e32 v55, v63, v51
	v_fma_f32 v16, -v16, v55, v56
	s_delay_alu instid0(VALU_DEP_1)
	v_div_fmas_f32 v51, v16, v51, v55
	s_mov_b32 vcc_lo, s4
	v_fma_f32 v16, -v39, v48, v48
	v_div_fmas_f32 v50, v50, v52, v61
	v_mul_f32_e32 v52, 0x37800000, v54
	v_cmp_class_f32_e64 vcc_lo, v53, 0x260
	v_mul_f32_e32 v48, v47, v22
	v_fmac_f32_e32 v16, v39, v20
	v_div_fixup_f32 v10, v50, v41, v21
	v_max_f32_e32 v21, v24, v24
	v_cndmask_b32_e64 v24, v54, v52, s3
	v_div_fixup_f32 v11, v51, v11, v49
	v_fma_f32 v51, -v45, v5, v5
	v_add_f32_e32 v10, v10, v40
	v_max_f32_e32 v20, v21, v16
	v_cndmask_b32_e32 v24, v24, v53, vcc_lo
	s_delay_alu instid0(VALU_DEP_4) | instskip(NEXT) | instid1(VALU_DEP_4)
	v_cndmask_b32_e64 v5, v5, v51, s2
	v_div_scale_f32 v50, null, v10, v10, v48
	s_delay_alu instid0(VALU_DEP_3) | instskip(SKIP_1) | instid1(VALU_DEP_3)
	v_div_scale_f32 v52, null, v41, v41, v24
	v_cmp_gt_f32_e64 s3, 0xf800000, v20
	v_rcp_f32_e32 v53, v50
	v_div_scale_f32 v61, s4, v24, v41, v24
	s_delay_alu instid0(VALU_DEP_3) | instskip(SKIP_3) | instid1(VALU_DEP_1)
	v_rcp_f32_e32 v54, v52
	v_div_scale_f32 v59, vcc_lo, v48, v10, v48
	s_waitcnt_depctr 0xfff
	v_fma_f32 v58, -v52, v54, 1.0
	v_dual_fmac_f32 v54, v58, v54 :: v_dual_mul_f32 v21, 0x4f800000, v20
	s_delay_alu instid0(VALU_DEP_1) | instskip(NEXT) | instid1(VALU_DEP_2)
	v_mul_f32_e32 v62, v61, v54
	v_cndmask_b32_e64 v55, v20, v21, s3
	v_fma_f32 v21, -v50, v53, 1.0
	s_delay_alu instid0(VALU_DEP_3) | instskip(NEXT) | instid1(VALU_DEP_3)
	v_fma_f32 v66, -v52, v62, v61
	v_sqrt_f32_e32 v56, v55
	s_delay_alu instid0(VALU_DEP_1) | instskip(NEXT) | instid1(VALU_DEP_1)
	v_dual_fmac_f32 v53, v21, v53 :: v_dual_fmac_f32 v62, v66, v54
	v_mul_f32_e32 v58, v59, v53
	s_delay_alu instid0(VALU_DEP_2) | instskip(SKIP_4) | instid1(VALU_DEP_3)
	v_fma_f32 v52, -v52, v62, v61
	s_waitcnt_depctr 0xfff
	v_add_nc_u32_e32 v63, 1, v56
	v_fma_f32 v64, -v50, v58, v59
	v_add_nc_u32_e32 v21, -1, v56
	v_fma_f32 v67, -v63, v56, v55
	s_delay_alu instid0(VALU_DEP_3) | instskip(NEXT) | instid1(VALU_DEP_3)
	v_fmac_f32_e32 v58, v64, v53
	v_fma_f32 v65, -v21, v56, v55
	s_delay_alu instid0(VALU_DEP_2) | instskip(NEXT) | instid1(VALU_DEP_2)
	v_fma_f32 v50, -v50, v58, v59
	v_cmp_ge_f32_e64 s5, 0, v65
	s_delay_alu instid0(VALU_DEP_2) | instskip(NEXT) | instid1(VALU_DEP_2)
	v_div_fmas_f32 v50, v50, v53, v58
	v_cndmask_b32_e64 v56, v56, v21, s5
	v_fma_f32 v21, -v38, v57, v57
	s_mov_b32 vcc_lo, s4
	v_cmp_lt_f32_e64 s5, 0, v67
	v_div_fmas_f32 v52, v52, v54, v62
	v_cmp_class_f32_e64 vcc_lo, v55, 0x260
	v_fmac_f32_e32 v21, v38, v9
	v_div_fixup_f32 v10, v50, v10, v48
	s_delay_alu instid0(VALU_DEP_4) | instskip(NEXT) | instid1(VALU_DEP_3)
	v_div_fixup_f32 v9, v52, v41, v24
	v_mul_f32_e32 v52, v47, v21
	v_cndmask_b32_e64 v56, v56, v63, s5
	s_delay_alu instid0(VALU_DEP_3) | instskip(NEXT) | instid1(VALU_DEP_2)
	v_add_f32_e32 v9, v9, v40
	v_mul_f32_e32 v53, 0x37800000, v56
	s_delay_alu instid0(VALU_DEP_1) | instskip(NEXT) | instid1(VALU_DEP_1)
	v_cndmask_b32_e64 v24, v56, v53, s3
	v_cndmask_b32_e32 v53, v24, v55, vcc_lo
	s_delay_alu instid0(VALU_DEP_4) | instskip(SKIP_1) | instid1(VALU_DEP_3)
	v_div_scale_f32 v24, null, v9, v9, v52
	v_div_scale_f32 v59, vcc_lo, v52, v9, v52
	v_div_scale_f32 v54, null, v41, v41, v53
	s_delay_alu instid0(VALU_DEP_3) | instskip(NEXT) | instid1(VALU_DEP_1)
	v_rcp_f32_e32 v55, v24
	v_rcp_f32_e32 v56, v54
	s_waitcnt_depctr 0xfff
	v_fma_f32 v57, -v24, v55, 1.0
	v_fma_f32 v58, -v54, v56, 1.0
	s_delay_alu instid0(VALU_DEP_1) | instskip(SKIP_1) | instid1(VALU_DEP_1)
	v_dual_fmac_f32 v55, v57, v55 :: v_dual_fmac_f32 v56, v58, v56
	v_div_scale_f32 v57, s3, v53, v41, v53
	v_dual_mul_f32 v58, v59, v55 :: v_dual_mul_f32 v61, v57, v56
	s_delay_alu instid0(VALU_DEP_1) | instskip(NEXT) | instid1(VALU_DEP_2)
	v_fma_f32 v62, -v24, v58, v59
	v_fma_f32 v63, -v54, v61, v57
	s_delay_alu instid0(VALU_DEP_1) | instskip(NEXT) | instid1(VALU_DEP_1)
	v_dual_fmac_f32 v58, v62, v55 :: v_dual_fmac_f32 v61, v63, v56
	v_fma_f32 v59, -v24, v58, v59
	v_fma_f32 v24, -v38, v60, v60
	;; [unrolled: 1-line block ×3, first 2 shown]
	s_delay_alu instid0(VALU_DEP_4) | instskip(NEXT) | instid1(VALU_DEP_3)
	v_fma_f32 v54, -v54, v61, v57
	v_fmac_f32_e32 v24, v38, v12
	v_div_fmas_f32 v55, v59, v55, v58
	s_mov_b32 vcc_lo, s3
	v_cndmask_b32_e64 v7, v7, v60, s2
	v_div_fmas_f32 v54, v54, v56, v61
	v_fma_f32 v61, -v45, v6, v6
	v_div_fixup_f32 v9, v55, v9, v52
	s_delay_alu instid0(VALU_DEP_4) | instskip(NEXT) | instid1(VALU_DEP_4)
	v_sub_f32_e32 v7, v7, v11
	v_div_fixup_f32 v12, v54, v41, v53
	v_mul_f32_e32 v53, v47, v24
	v_cndmask_b32_e64 v6, v6, v61, s2
	s_delay_alu instid0(VALU_DEP_3) | instskip(NEXT) | instid1(VALU_DEP_2)
	v_dual_sub_f32 v5, v5, v9 :: v_dual_add_f32 v12, v12, v40
	v_sub_f32_e32 v6, v6, v10
	s_delay_alu instid0(VALU_DEP_2) | instskip(NEXT) | instid1(VALU_DEP_1)
	v_div_scale_f32 v54, null, v12, v12, v53
	v_rcp_f32_e32 v56, v54
	s_waitcnt_depctr 0xfff
	v_fma_f32 v57, -v54, v56, 1.0
	s_delay_alu instid0(VALU_DEP_1) | instskip(SKIP_1) | instid1(VALU_DEP_1)
	v_fmac_f32_e32 v56, v57, v56
	v_div_scale_f32 v57, vcc_lo, v53, v12, v53
	v_mul_f32_e32 v58, v57, v56
	s_delay_alu instid0(VALU_DEP_1) | instskip(NEXT) | instid1(VALU_DEP_1)
	v_fma_f32 v59, -v54, v58, v57
	v_fmac_f32_e32 v58, v59, v56
	s_delay_alu instid0(VALU_DEP_1) | instskip(SKIP_1) | instid1(VALU_DEP_2)
	v_fma_f32 v49, -v54, v58, v57
	v_fma_f32 v54, -v45, v8, v8
	v_div_fmas_f32 v49, v49, v56, v58
	s_delay_alu instid0(VALU_DEP_2) | instskip(SKIP_1) | instid1(VALU_DEP_2)
	v_cndmask_b32_e64 v8, v8, v54, s2
	s_and_not1_b32 vcc_lo, exec_lo, s30
	v_div_fixup_f32 v12, v49, v12, v53
	s_delay_alu instid0(VALU_DEP_1)
	v_sub_f32_e32 v8, v8, v12
	global_store_b128 v[36:37], v[5:8], off
	s_cbranch_vccnz .LBB2_9
; %bb.19:                               ;   in Loop: Header=BB2_10 Depth=1
	global_store_b128 v[34:35], v[1:4], off
	s_branch .LBB2_9
.LBB2_20:
                                        ; implicit-def: $sgpr4
	v_mov_b32_e32 v42, s4
	s_branch .LBB2_2
.LBB2_21:
	s_or_b32 exec_lo, exec_lo, s28
	s_mov_b32 s2, 0
.LBB2_22:
	s_delay_alu instid0(SALU_CYCLE_1)
	s_and_not1_b32 vcc_lo, exec_lo, s2
	s_cbranch_vccnz .LBB2_100
; %bb.23:
	v_cmp_lt_i64_e64 s2, s[6:7], 1
	s_delay_alu instid0(VALU_DEP_1)
	s_and_b32 vcc_lo, exec_lo, s2
	s_cbranch_vccnz .LBB2_100
; %bb.24:
	v_div_scale_f32 v14, null, v43, v43, v42
	s_load_b32 s1, s[0:1], 0xd34
	v_div_scale_f32 v16, vcc_lo, v42, v43, v42
	s_delay_alu instid0(VALU_DEP_2) | instskip(SKIP_3) | instid1(VALU_DEP_3)
	v_rcp_f32_e32 v15, v14
	v_dual_mov_b32 v2, 0 :: v_dual_lshlrev_b32 v1, 2, v0
	v_cmp_gt_u64_e64 s2, 0x10000, s[6:7]
	v_cmp_neq_f32_e64 s0, 0, v44
	v_add_co_u32 v4, s3, s14, v1
	s_delay_alu instid0(VALU_DEP_1) | instskip(SKIP_3) | instid1(VALU_DEP_1)
	v_add_co_ci_u32_e64 v5, null, s15, 0, s3
	s_waitcnt_depctr 0xfff
	v_fma_f32 v8, -v14, v15, 1.0
	v_add_co_u32 v6, s3, s20, v1
	v_add_co_ci_u32_e64 v7, null, s21, 0, s3
	s_delay_alu instid0(VALU_DEP_3)
	v_fmac_f32_e32 v15, v8, v15
	s_waitcnt lgkmcnt(0)
	s_and_b32 s1, s1, 0xffff
	v_add_co_u32 v8, s3, s24, v1
	v_mad_u64_u32 v[23:24], null, s1, 12, v[1:2]
	v_mul_f32_e32 v17, v16, v15
	v_add_co_ci_u32_e64 v9, null, s25, 0, s3
	v_add_co_u32 v10, s3, s26, v1
	s_delay_alu instid0(VALU_DEP_3)
	v_fma_f32 v18, -v14, v17, v16
	s_and_b32 s2, s2, exec_lo
	s_cselect_b32 s11, s7, 0
	s_cselect_b32 s10, s6, 0x10000
	s_lshl_b32 s2, s1, 1
	v_fmac_f32_e32 v17, v18, v15
	v_add_co_ci_u32_e64 v11, null, s27, 0, s3
	v_add_co_u32 v12, s3, s22, v1
	s_delay_alu instid0(VALU_DEP_3) | instskip(SKIP_3) | instid1(VALU_DEP_2)
	v_fma_f32 v14, -v14, v17, v16
	s_cmp_lg_u64 s[12:13], 0
	v_add_co_ci_u32_e64 v13, null, s23, 0, s3
	s_mul_i32 s3, s1, 3
	v_div_fmas_f32 v14, v14, v15, v17
	v_add_co_u32 v15, vcc_lo, s14, v23
	v_add_co_ci_u32_e32 v16, vcc_lo, s15, v24, vcc_lo
	v_add_co_u32 v17, vcc_lo, s20, v23
	s_cselect_b32 s16, -1, 0
	v_add_co_ci_u32_e32 v18, vcc_lo, s21, v24, vcc_lo
	s_lshl_b32 s4, s1, 3
	v_add_co_u32 v19, vcc_lo, s24, v23
	v_add_co_u32 v35, s4, s4, v1
	v_add_co_u32 v1, s3, s3, v0
	v_add_co_ci_u32_e32 v20, vcc_lo, s25, v24, vcc_lo
	v_add_co_u32 v21, vcc_lo, s26, v23
	v_add_co_ci_u32_e64 v25, null, 0, 0, s3
	v_add_co_u32 v34, s3, v0, s1
	v_add_co_ci_u32_e32 v22, vcc_lo, s27, v24, vcc_lo
	v_add_co_u32 v23, vcc_lo, s22, v23
	v_add_co_ci_u32_e64 v36, null, 0, 0, s4
	s_delay_alu instid0(VALU_DEP_4)
	v_dual_mul_f32 v3, v42, v44 :: v_dual_lshlrev_b32 v52, 2, v34
	v_add_co_ci_u32_e32 v24, vcc_lo, s23, v24, vcc_lo
	v_add_co_u32 v26, vcc_lo, s14, v35
	v_div_fixup_f32 v14, v14, v43, v42
	v_add_co_ci_u32_e32 v27, vcc_lo, s15, v36, vcc_lo
	v_add_co_u32 v42, s2, s2, v0
	v_add_co_u32 v28, vcc_lo, s20, v35
	v_add_co_ci_u32_e64 v43, null, 0, 0, s2
	v_add_co_u32 v44, s2, s14, v52
	v_add_co_ci_u32_e32 v29, vcc_lo, s21, v36, vcc_lo
	v_add_co_u32 v30, vcc_lo, s24, v35
	v_add_co_ci_u32_e64 v45, null, s15, 0, s2
	v_add_co_u32 v46, s2, s20, v52
	v_add_co_ci_u32_e32 v31, vcc_lo, s25, v36, vcc_lo
	v_add_co_ci_u32_e64 v47, null, s21, 0, s2
	v_add_co_u32 v48, s2, s24, v52
	v_add_co_u32 v32, vcc_lo, s26, v35
	v_add_co_ci_u32_e64 v49, null, s25, 0, s2
	v_add_co_u32 v50, s2, s26, v52
	v_add_co_ci_u32_e32 v33, vcc_lo, s27, v36, vcc_lo
	v_add_co_u32 v35, vcc_lo, s22, v35
	v_add_co_ci_u32_e64 v51, null, s27, 0, s2
	v_add_co_u32 v52, s2, s22, v52
	v_add_co_ci_u32_e32 v36, vcc_lo, s23, v36, vcc_lo
	v_add_co_ci_u32_e64 v37, null, 0, 0, s3
	v_add_co_ci_u32_e64 v53, null, s23, 0, s2
	s_mov_b64 s[14:15], 0
	s_lshl_b32 s17, s1, 2
	s_lshl_b32 s18, s1, 4
	s_branch .LBB2_26
.LBB2_25:                               ;   in Loop: Header=BB2_26 Depth=1
	s_or_b32 exec_lo, exec_lo, s1
	v_add_co_u32 v4, vcc_lo, v4, s18
	v_add_co_ci_u32_e32 v5, vcc_lo, 0, v5, vcc_lo
	v_add_co_u32 v6, vcc_lo, v6, s18
	v_add_co_ci_u32_e32 v7, vcc_lo, 0, v7, vcc_lo
	;; [unrolled: 2-line block ×17, first 2 shown]
	s_add_u32 s14, s14, s17
	v_add_co_u32 v48, vcc_lo, v48, s18
	s_addc_u32 s15, s15, 0
	v_add_co_ci_u32_e32 v49, vcc_lo, 0, v49, vcc_lo
	v_cmp_ge_i64_e64 s1, s[14:15], s[6:7]
	v_cmp_lt_u64_e64 s2, 0xffff, s[14:15]
	v_add_co_u32 v50, vcc_lo, v50, s18
	v_add_co_ci_u32_e32 v51, vcc_lo, 0, v51, vcc_lo
	v_add_co_u32 v52, vcc_lo, v52, s18
	v_add_co_ci_u32_e32 v53, vcc_lo, 0, v53, vcc_lo
	s_or_b32 s1, s1, s2
	s_delay_alu instid0(SALU_CYCLE_1)
	s_and_b32 vcc_lo, exec_lo, s1
	s_cbranch_vccnz .LBB2_100
.LBB2_26:                               ; =>This Inner Loop Header: Depth=1
	v_add_co_u32 v54, s1, v0, s14
	s_delay_alu instid0(VALU_DEP_1) | instskip(SKIP_1) | instid1(VALU_DEP_2)
	v_add_co_ci_u32_e64 v55, null, 0, s15, s1
	v_mov_b32_e32 v62, 0
	v_cmp_gt_u64_e64 s1, s[10:11], v[54:55]
	v_mov_b32_e32 v54, 0
	s_delay_alu instid0(VALU_DEP_2)
	s_and_saveexec_b32 s2, s1
	s_cbranch_execz .LBB2_28
; %bb.27:                               ;   in Loop: Header=BB2_26 Depth=1
	v_add_co_u32 v54, vcc_lo, v4, s8
	v_add_co_ci_u32_e32 v55, vcc_lo, s9, v5, vcc_lo
	v_add_co_u32 v56, vcc_lo, v6, s8
	v_add_co_ci_u32_e32 v57, vcc_lo, s9, v7, vcc_lo
	global_load_b32 v62, v[54:55], off
	global_load_b32 v54, v[56:57], off
.LBB2_28:                               ;   in Loop: Header=BB2_26 Depth=1
	s_or_b32 exec_lo, exec_lo, s2
	v_dual_mov_b32 v59, 0 :: v_dual_mov_b32 v74, 0
	v_mov_b32_e32 v71, 0
	s_and_saveexec_b32 s2, s1
	s_cbranch_execz .LBB2_30
; %bb.29:                               ;   in Loop: Header=BB2_26 Depth=1
	v_add_co_u32 v55, vcc_lo, v8, s8
	v_add_co_ci_u32_e32 v56, vcc_lo, s9, v9, vcc_lo
	v_add_co_u32 v57, vcc_lo, v10, s8
	v_add_co_ci_u32_e32 v58, vcc_lo, s9, v11, vcc_lo
	global_load_b32 v71, v[55:56], off
	global_load_b32 v74, v[57:58], off
.LBB2_30:                               ;   in Loop: Header=BB2_26 Depth=1
	s_or_b32 exec_lo, exec_lo, s2
	s_and_saveexec_b32 s2, s1
	s_cbranch_execz .LBB2_32
; %bb.31:                               ;   in Loop: Header=BB2_26 Depth=1
	v_add_co_u32 v55, vcc_lo, v12, s8
	v_add_co_ci_u32_e32 v56, vcc_lo, s9, v13, vcc_lo
	global_load_b32 v59, v[55:56], off
.LBB2_32:                               ;   in Loop: Header=BB2_26 Depth=1
	s_or_b32 exec_lo, exec_lo, s2
	v_add_co_u32 v55, vcc_lo, v34, s14
	v_add_co_ci_u32_e32 v56, vcc_lo, s15, v37, vcc_lo
	v_mov_b32_e32 v65, 0
	v_mov_b32_e32 v61, 0
	s_delay_alu instid0(VALU_DEP_3) | instskip(SKIP_1) | instid1(VALU_DEP_2)
	v_cmp_gt_u64_e64 s2, s[10:11], v[55:56]
	v_mov_b32_e32 v55, 0
	s_and_saveexec_b32 s3, s2
	s_cbranch_execz .LBB2_34
; %bb.33:                               ;   in Loop: Header=BB2_26 Depth=1
	v_add_co_u32 v55, vcc_lo, v44, s8
	v_add_co_ci_u32_e32 v56, vcc_lo, s9, v45, vcc_lo
	v_add_co_u32 v57, vcc_lo, v46, s8
	v_add_co_ci_u32_e32 v58, vcc_lo, s9, v47, vcc_lo
	global_load_b32 v61, v[55:56], off
	global_load_b32 v55, v[57:58], off
.LBB2_34:                               ;   in Loop: Header=BB2_26 Depth=1
	s_or_b32 exec_lo, exec_lo, s3
	v_mov_b32_e32 v72, 0
	s_and_saveexec_b32 s3, s2
	s_cbranch_execz .LBB2_36
; %bb.35:                               ;   in Loop: Header=BB2_26 Depth=1
	v_add_co_u32 v56, vcc_lo, v48, s8
	v_add_co_ci_u32_e32 v57, vcc_lo, s9, v49, vcc_lo
	v_add_co_u32 v63, vcc_lo, v50, s8
	v_add_co_ci_u32_e32 v64, vcc_lo, s9, v51, vcc_lo
	global_load_b32 v65, v[56:57], off
	global_load_b32 v72, v[63:64], off
.LBB2_36:                               ;   in Loop: Header=BB2_26 Depth=1
	s_or_b32 exec_lo, exec_lo, s3
	v_dual_mov_b32 v58, 0 :: v_dual_mov_b32 v75, 0
	s_and_saveexec_b32 s3, s2
	s_cbranch_execz .LBB2_38
; %bb.37:                               ;   in Loop: Header=BB2_26 Depth=1
	v_add_co_u32 v56, vcc_lo, v52, s8
	v_add_co_ci_u32_e32 v57, vcc_lo, s9, v53, vcc_lo
	global_load_b32 v75, v[56:57], off
.LBB2_38:                               ;   in Loop: Header=BB2_26 Depth=1
	s_or_b32 exec_lo, exec_lo, s3
	v_add_co_u32 v56, vcc_lo, v42, s14
	v_add_co_ci_u32_e32 v57, vcc_lo, s15, v43, vcc_lo
	s_delay_alu instid0(VALU_DEP_1) | instskip(SKIP_1) | instid1(VALU_DEP_2)
	v_cmp_gt_u64_e64 s3, s[10:11], v[56:57]
	v_mov_b32_e32 v56, 0
	s_and_saveexec_b32 s4, s3
	s_cbranch_execz .LBB2_40
; %bb.39:                               ;   in Loop: Header=BB2_26 Depth=1
	v_add_co_u32 v56, vcc_lo, v26, s8
	v_add_co_ci_u32_e32 v57, vcc_lo, s9, v27, vcc_lo
	v_add_co_u32 v63, vcc_lo, v28, s8
	v_add_co_ci_u32_e32 v64, vcc_lo, s9, v29, vcc_lo
	global_load_b32 v58, v[56:57], off
	global_load_b32 v56, v[63:64], off
.LBB2_40:                               ;   in Loop: Header=BB2_26 Depth=1
	s_or_b32 exec_lo, exec_lo, s4
	v_dual_mov_b32 v67, 0 :: v_dual_mov_b32 v70, 0
	v_mov_b32_e32 v69, 0
	s_and_saveexec_b32 s4, s3
	s_cbranch_execz .LBB2_42
; %bb.41:                               ;   in Loop: Header=BB2_26 Depth=1
	v_add_co_u32 v63, vcc_lo, v30, s8
	v_add_co_ci_u32_e32 v64, vcc_lo, s9, v31, vcc_lo
	v_add_co_u32 v76, vcc_lo, v32, s8
	v_add_co_ci_u32_e32 v77, vcc_lo, s9, v33, vcc_lo
	global_load_b32 v69, v[63:64], off
	global_load_b32 v70, v[76:77], off
.LBB2_42:                               ;   in Loop: Header=BB2_26 Depth=1
	s_or_b32 exec_lo, exec_lo, s4
	s_and_saveexec_b32 s4, s3
	s_cbranch_execz .LBB2_44
; %bb.43:                               ;   in Loop: Header=BB2_26 Depth=1
	v_add_co_u32 v63, vcc_lo, v35, s8
	v_add_co_ci_u32_e32 v64, vcc_lo, s9, v36, vcc_lo
	global_load_b32 v67, v[63:64], off
.LBB2_44:                               ;   in Loop: Header=BB2_26 Depth=1
	s_or_b32 exec_lo, exec_lo, s4
	v_add_co_u32 v76, vcc_lo, v1, s14
	v_add_co_ci_u32_e32 v77, vcc_lo, s15, v25, vcc_lo
	v_dual_mov_b32 v64, 0 :: v_dual_mov_b32 v57, 0
	v_mov_b32_e32 v60, 0
	s_delay_alu instid0(VALU_DEP_3) | instskip(NEXT) | instid1(VALU_DEP_1)
	v_cmp_gt_u64_e64 s4, s[10:11], v[76:77]
	s_and_saveexec_b32 s5, s4
	s_cbranch_execnz .LBB2_82
; %bb.45:                               ;   in Loop: Header=BB2_26 Depth=1
	s_or_b32 exec_lo, exec_lo, s5
	v_mov_b32_e32 v68, 0
	s_and_saveexec_b32 s5, s4
	s_cbranch_execnz .LBB2_83
.LBB2_46:                               ;   in Loop: Header=BB2_26 Depth=1
	s_or_b32 exec_lo, exec_lo, s5
	v_mov_b32_e32 v73, 0
	s_and_saveexec_b32 s5, s4
	s_cbranch_execnz .LBB2_84
.LBB2_47:                               ;   in Loop: Header=BB2_26 Depth=1
	s_or_b32 exec_lo, exec_lo, s5
	s_delay_alu instid0(SALU_CYCLE_1)
	s_and_not1_b32 vcc_lo, exec_lo, s16
	s_cbranch_vccnz .LBB2_49
.LBB2_48:                               ;   in Loop: Header=BB2_26 Depth=1
	global_load_b32 v63, v2, s[12:13]
	s_waitcnt vmcnt(0)
	v_div_scale_f32 v66, null, v63, v63, v54
	s_delay_alu instid0(VALU_DEP_1) | instskip(SKIP_2) | instid1(VALU_DEP_1)
	v_rcp_f32_e32 v76, v66
	s_waitcnt_depctr 0xfff
	v_fma_f32 v77, -v66, v76, 1.0
	v_fmac_f32_e32 v76, v77, v76
	v_div_scale_f32 v77, vcc_lo, v54, v63, v54
	s_delay_alu instid0(VALU_DEP_1) | instskip(NEXT) | instid1(VALU_DEP_1)
	v_mul_f32_e32 v78, v77, v76
	v_fma_f32 v79, -v66, v78, v77
	s_delay_alu instid0(VALU_DEP_1) | instskip(NEXT) | instid1(VALU_DEP_1)
	v_fmac_f32_e32 v78, v79, v76
	v_fma_f32 v66, -v66, v78, v77
	s_delay_alu instid0(VALU_DEP_1) | instskip(NEXT) | instid1(VALU_DEP_1)
	v_div_fmas_f32 v66, v66, v76, v78
	v_div_fixup_f32 v54, v66, v63, v54
.LBB2_49:                               ;   in Loop: Header=BB2_26 Depth=1
	s_and_not1_b32 vcc_lo, exec_lo, s16
	s_cbranch_vccnz .LBB2_51
; %bb.50:                               ;   in Loop: Header=BB2_26 Depth=1
	global_load_b32 v63, v2, s[12:13]
	s_waitcnt vmcnt(0)
	v_div_scale_f32 v66, null, v63, v63, v55
	s_delay_alu instid0(VALU_DEP_1) | instskip(SKIP_2) | instid1(VALU_DEP_1)
	v_rcp_f32_e32 v76, v66
	s_waitcnt_depctr 0xfff
	v_fma_f32 v77, -v66, v76, 1.0
	v_fmac_f32_e32 v76, v77, v76
	v_div_scale_f32 v77, vcc_lo, v55, v63, v55
	s_delay_alu instid0(VALU_DEP_1) | instskip(NEXT) | instid1(VALU_DEP_1)
	v_mul_f32_e32 v78, v77, v76
	v_fma_f32 v79, -v66, v78, v77
	s_delay_alu instid0(VALU_DEP_1) | instskip(NEXT) | instid1(VALU_DEP_1)
	v_fmac_f32_e32 v78, v79, v76
	v_fma_f32 v66, -v66, v78, v77
	s_delay_alu instid0(VALU_DEP_1) | instskip(NEXT) | instid1(VALU_DEP_1)
	v_div_fmas_f32 v66, v66, v76, v78
	v_div_fixup_f32 v55, v66, v63, v55
.LBB2_51:                               ;   in Loop: Header=BB2_26 Depth=1
	s_and_not1_b32 vcc_lo, exec_lo, s16
	s_cbranch_vccnz .LBB2_53
; %bb.52:                               ;   in Loop: Header=BB2_26 Depth=1
	global_load_b32 v63, v2, s[12:13]
	s_waitcnt vmcnt(0)
	v_div_scale_f32 v66, null, v63, v63, v56
	s_delay_alu instid0(VALU_DEP_1) | instskip(SKIP_2) | instid1(VALU_DEP_1)
	v_rcp_f32_e32 v76, v66
	s_waitcnt_depctr 0xfff
	v_fma_f32 v77, -v66, v76, 1.0
	v_fmac_f32_e32 v76, v77, v76
	v_div_scale_f32 v77, vcc_lo, v56, v63, v56
	s_delay_alu instid0(VALU_DEP_1) | instskip(NEXT) | instid1(VALU_DEP_1)
	v_mul_f32_e32 v78, v77, v76
	v_fma_f32 v79, -v66, v78, v77
	s_delay_alu instid0(VALU_DEP_1) | instskip(NEXT) | instid1(VALU_DEP_1)
	v_fmac_f32_e32 v78, v79, v76
	v_fma_f32 v66, -v66, v78, v77
	s_delay_alu instid0(VALU_DEP_1) | instskip(NEXT) | instid1(VALU_DEP_1)
	v_div_fmas_f32 v66, v66, v76, v78
	v_div_fixup_f32 v56, v66, v63, v56
.LBB2_53:                               ;   in Loop: Header=BB2_26 Depth=1
	;; [unrolled: 22-line block ×3, first 2 shown]
	s_waitcnt vmcnt(0)
	v_cndmask_b32_e64 v66, v54, -v54, s33
	v_max_f32_e32 v59, v59, v59
	s_delay_alu instid0(VALU_DEP_2) | instskip(SKIP_1) | instid1(VALU_DEP_2)
	v_mul_f32_e32 v63, v66, v66
	v_fma_f32 v66, -v38, v66, v66
	v_fma_f32 v63, -v39, v63, v63
	s_delay_alu instid0(VALU_DEP_1) | instskip(NEXT) | instid1(VALU_DEP_1)
	v_dual_fmac_f32 v66, v38, v71 :: v_dual_fmac_f32 v63, v39, v74
	v_max_f32_e32 v59, v59, v63
	s_and_saveexec_b32 s19, s1
	s_cbranch_execz .LBB2_57
; %bb.56:                               ;   in Loop: Header=BB2_26 Depth=1
	s_delay_alu instid0(VALU_DEP_1) | instskip(SKIP_1) | instid1(VALU_DEP_2)
	v_mul_f32_e32 v71, 0x4f800000, v59
	v_cmp_gt_f32_e32 vcc_lo, 0xf800000, v59
	v_cndmask_b32_e32 v71, v59, v71, vcc_lo
	s_delay_alu instid0(VALU_DEP_1) | instskip(SKIP_3) | instid1(VALU_DEP_2)
	v_sqrt_f32_e32 v74, v71
	s_waitcnt_depctr 0xfff
	v_add_nc_u32_e32 v76, -1, v74
	v_add_nc_u32_e32 v77, 1, v74
	v_fma_f32 v78, -v76, v74, v71
	s_delay_alu instid0(VALU_DEP_2) | instskip(NEXT) | instid1(VALU_DEP_2)
	v_fma_f32 v79, -v77, v74, v71
	v_cmp_ge_f32_e64 s5, 0, v78
	s_delay_alu instid0(VALU_DEP_1) | instskip(NEXT) | instid1(VALU_DEP_3)
	v_cndmask_b32_e64 v74, v74, v76, s5
	v_cmp_lt_f32_e64 s5, 0, v79
	s_delay_alu instid0(VALU_DEP_1) | instskip(NEXT) | instid1(VALU_DEP_1)
	v_cndmask_b32_e64 v74, v74, v77, s5
	v_mul_f32_e32 v76, 0x37800000, v74
	s_delay_alu instid0(VALU_DEP_1) | instskip(SKIP_1) | instid1(VALU_DEP_2)
	v_cndmask_b32_e32 v74, v74, v76, vcc_lo
	v_cmp_class_f32_e64 vcc_lo, v71, 0x260
	v_cndmask_b32_e32 v71, v74, v71, vcc_lo
	s_delay_alu instid0(VALU_DEP_1) | instskip(NEXT) | instid1(VALU_DEP_1)
	v_div_scale_f32 v74, null, v41, v41, v71
	v_rcp_f32_e32 v76, v74
	s_waitcnt_depctr 0xfff
	v_fma_f32 v77, -v74, v76, 1.0
	s_delay_alu instid0(VALU_DEP_1) | instskip(SKIP_1) | instid1(VALU_DEP_1)
	v_fmac_f32_e32 v76, v77, v76
	v_div_scale_f32 v78, vcc_lo, v71, v41, v71
	v_mul_f32_e32 v77, v78, v76
	s_delay_alu instid0(VALU_DEP_1) | instskip(NEXT) | instid1(VALU_DEP_1)
	v_fma_f32 v79, -v74, v77, v78
	v_fmac_f32_e32 v77, v79, v76
	s_delay_alu instid0(VALU_DEP_1) | instskip(NEXT) | instid1(VALU_DEP_1)
	v_fma_f32 v74, -v74, v77, v78
	v_div_fmas_f32 v74, v74, v76, v77
	s_delay_alu instid0(VALU_DEP_1) | instskip(NEXT) | instid1(VALU_DEP_1)
	v_div_fixup_f32 v71, v74, v41, v71
	v_dual_mul_f32 v74, v14, v66 :: v_dual_add_f32 v71, v71, v40
	s_delay_alu instid0(VALU_DEP_1) | instskip(SKIP_1) | instid1(VALU_DEP_2)
	v_div_scale_f32 v76, null, v71, v71, v74
	v_div_scale_f32 v79, vcc_lo, v74, v71, v74
	v_rcp_f32_e32 v77, v76
	s_waitcnt_depctr 0xfff
	v_fma_f32 v78, -v76, v77, 1.0
	s_delay_alu instid0(VALU_DEP_1) | instskip(NEXT) | instid1(VALU_DEP_1)
	v_fmac_f32_e32 v77, v78, v77
	v_mul_f32_e32 v78, v79, v77
	s_delay_alu instid0(VALU_DEP_1) | instskip(NEXT) | instid1(VALU_DEP_1)
	v_fma_f32 v80, -v76, v78, v79
	v_fmac_f32_e32 v78, v80, v77
	s_delay_alu instid0(VALU_DEP_1) | instskip(SKIP_1) | instid1(VALU_DEP_2)
	v_fma_f32 v76, -v76, v78, v79
	v_fma_f32 v79, -v3, v62, v62
	v_div_fmas_f32 v76, v76, v77, v78
	s_delay_alu instid0(VALU_DEP_2) | instskip(NEXT) | instid1(VALU_DEP_2)
	v_cndmask_b32_e64 v62, v62, v79, s0
	v_div_fixup_f32 v71, v76, v71, v74
	v_add_co_u32 v76, vcc_lo, v4, s8
	v_add_co_ci_u32_e32 v77, vcc_lo, s9, v5, vcc_lo
	s_delay_alu instid0(VALU_DEP_3)
	v_sub_f32_e32 v62, v62, v71
	global_store_b32 v[76:77], v62, off
.LBB2_57:                               ;   in Loop: Header=BB2_26 Depth=1
	s_or_b32 exec_lo, exec_lo, s19
	v_cndmask_b32_e64 v62, v55, -v55, s33
	s_delay_alu instid0(VALU_DEP_1) | instskip(SKIP_2) | instid1(VALU_DEP_3)
	v_mul_f32_e32 v71, v62, v62
	v_fma_f32 v74, -v38, v62, v62
	v_max_f32_e32 v62, v75, v75
	v_fma_f32 v71, -v39, v71, v71
	s_delay_alu instid0(VALU_DEP_1) | instskip(NEXT) | instid1(VALU_DEP_1)
	v_dual_fmac_f32 v74, v38, v65 :: v_dual_fmac_f32 v71, v39, v72
	v_max_f32_e32 v62, v62, v71
	s_and_saveexec_b32 s19, s2
	s_cbranch_execz .LBB2_59
; %bb.58:                               ;   in Loop: Header=BB2_26 Depth=1
	s_delay_alu instid0(VALU_DEP_1) | instskip(SKIP_1) | instid1(VALU_DEP_2)
	v_mul_f32_e32 v65, 0x4f800000, v62
	v_cmp_gt_f32_e32 vcc_lo, 0xf800000, v62
	v_cndmask_b32_e32 v65, v62, v65, vcc_lo
	s_delay_alu instid0(VALU_DEP_1) | instskip(SKIP_3) | instid1(VALU_DEP_2)
	v_sqrt_f32_e32 v72, v65
	s_waitcnt_depctr 0xfff
	v_add_nc_u32_e32 v75, -1, v72
	v_add_nc_u32_e32 v76, 1, v72
	v_fma_f32 v77, -v75, v72, v65
	s_delay_alu instid0(VALU_DEP_2) | instskip(NEXT) | instid1(VALU_DEP_2)
	v_fma_f32 v78, -v76, v72, v65
	v_cmp_ge_f32_e64 s5, 0, v77
	s_delay_alu instid0(VALU_DEP_1) | instskip(NEXT) | instid1(VALU_DEP_3)
	v_cndmask_b32_e64 v72, v72, v75, s5
	v_cmp_lt_f32_e64 s5, 0, v78
	s_delay_alu instid0(VALU_DEP_1) | instskip(NEXT) | instid1(VALU_DEP_1)
	v_cndmask_b32_e64 v72, v72, v76, s5
	v_mul_f32_e32 v75, 0x37800000, v72
	s_delay_alu instid0(VALU_DEP_1) | instskip(SKIP_1) | instid1(VALU_DEP_2)
	v_cndmask_b32_e32 v72, v72, v75, vcc_lo
	v_cmp_class_f32_e64 vcc_lo, v65, 0x260
	v_cndmask_b32_e32 v65, v72, v65, vcc_lo
	s_delay_alu instid0(VALU_DEP_1) | instskip(SKIP_1) | instid1(VALU_DEP_2)
	v_div_scale_f32 v72, null, v41, v41, v65
	v_div_scale_f32 v77, vcc_lo, v65, v41, v65
	v_rcp_f32_e32 v75, v72
	s_waitcnt_depctr 0xfff
	v_fma_f32 v76, -v72, v75, 1.0
	s_delay_alu instid0(VALU_DEP_1) | instskip(NEXT) | instid1(VALU_DEP_1)
	v_fmac_f32_e32 v75, v76, v75
	v_mul_f32_e32 v76, v77, v75
	s_delay_alu instid0(VALU_DEP_1) | instskip(NEXT) | instid1(VALU_DEP_1)
	v_fma_f32 v78, -v72, v76, v77
	v_fmac_f32_e32 v76, v78, v75
	s_delay_alu instid0(VALU_DEP_1) | instskip(NEXT) | instid1(VALU_DEP_1)
	v_fma_f32 v72, -v72, v76, v77
	v_div_fmas_f32 v72, v72, v75, v76
	s_delay_alu instid0(VALU_DEP_1) | instskip(NEXT) | instid1(VALU_DEP_1)
	v_div_fixup_f32 v65, v72, v41, v65
	v_dual_mul_f32 v72, v14, v74 :: v_dual_add_f32 v65, v65, v40
	s_delay_alu instid0(VALU_DEP_1) | instskip(SKIP_1) | instid1(VALU_DEP_2)
	v_div_scale_f32 v75, null, v65, v65, v72
	v_div_scale_f32 v78, vcc_lo, v72, v65, v72
	v_rcp_f32_e32 v76, v75
	s_waitcnt_depctr 0xfff
	v_fma_f32 v77, -v75, v76, 1.0
	s_delay_alu instid0(VALU_DEP_1) | instskip(NEXT) | instid1(VALU_DEP_1)
	v_fmac_f32_e32 v76, v77, v76
	v_mul_f32_e32 v77, v78, v76
	s_delay_alu instid0(VALU_DEP_1) | instskip(NEXT) | instid1(VALU_DEP_1)
	v_fma_f32 v79, -v75, v77, v78
	v_fmac_f32_e32 v77, v79, v76
	s_delay_alu instid0(VALU_DEP_1) | instskip(SKIP_1) | instid1(VALU_DEP_2)
	v_fma_f32 v75, -v75, v77, v78
	v_fma_f32 v78, -v3, v61, v61
	v_div_fmas_f32 v75, v75, v76, v77
	s_delay_alu instid0(VALU_DEP_2) | instskip(NEXT) | instid1(VALU_DEP_2)
	v_cndmask_b32_e64 v61, v61, v78, s0
	v_div_fixup_f32 v65, v75, v65, v72
	v_add_co_u32 v75, vcc_lo, v44, s8
	v_add_co_ci_u32_e32 v76, vcc_lo, s9, v45, vcc_lo
	s_delay_alu instid0(VALU_DEP_3)
	v_sub_f32_e32 v61, v61, v65
	global_store_b32 v[75:76], v61, off
.LBB2_59:                               ;   in Loop: Header=BB2_26 Depth=1
	s_or_b32 exec_lo, exec_lo, s19
	v_cndmask_b32_e64 v61, v56, -v56, s33
	s_delay_alu instid0(VALU_DEP_1) | instskip(SKIP_2) | instid1(VALU_DEP_3)
	v_mul_f32_e32 v65, v61, v61
	v_fma_f32 v72, -v38, v61, v61
	v_max_f32_e32 v61, v67, v67
	v_fma_f32 v65, -v39, v65, v65
	s_delay_alu instid0(VALU_DEP_1) | instskip(NEXT) | instid1(VALU_DEP_1)
	v_dual_fmac_f32 v72, v38, v69 :: v_dual_fmac_f32 v65, v39, v70
	v_max_f32_e32 v61, v61, v65
	s_and_saveexec_b32 s19, s3
	s_cbranch_execz .LBB2_61
; %bb.60:                               ;   in Loop: Header=BB2_26 Depth=1
	s_delay_alu instid0(VALU_DEP_1) | instskip(SKIP_1) | instid1(VALU_DEP_2)
	v_mul_f32_e32 v67, 0x4f800000, v61
	v_cmp_gt_f32_e32 vcc_lo, 0xf800000, v61
	v_cndmask_b32_e32 v67, v61, v67, vcc_lo
	s_delay_alu instid0(VALU_DEP_1) | instskip(SKIP_3) | instid1(VALU_DEP_2)
	v_sqrt_f32_e32 v69, v67
	s_waitcnt_depctr 0xfff
	v_add_nc_u32_e32 v70, -1, v69
	v_add_nc_u32_e32 v75, 1, v69
	v_fma_f32 v76, -v70, v69, v67
	s_delay_alu instid0(VALU_DEP_2) | instskip(NEXT) | instid1(VALU_DEP_2)
	v_fma_f32 v77, -v75, v69, v67
	v_cmp_ge_f32_e64 s5, 0, v76
	s_delay_alu instid0(VALU_DEP_1) | instskip(NEXT) | instid1(VALU_DEP_3)
	v_cndmask_b32_e64 v69, v69, v70, s5
	v_cmp_lt_f32_e64 s5, 0, v77
	s_delay_alu instid0(VALU_DEP_1) | instskip(NEXT) | instid1(VALU_DEP_1)
	v_cndmask_b32_e64 v69, v69, v75, s5
	v_mul_f32_e32 v70, 0x37800000, v69
	s_delay_alu instid0(VALU_DEP_1) | instskip(SKIP_1) | instid1(VALU_DEP_2)
	v_cndmask_b32_e32 v69, v69, v70, vcc_lo
	v_cmp_class_f32_e64 vcc_lo, v67, 0x260
	v_cndmask_b32_e32 v67, v69, v67, vcc_lo
	s_delay_alu instid0(VALU_DEP_1) | instskip(SKIP_1) | instid1(VALU_DEP_2)
	v_div_scale_f32 v69, null, v41, v41, v67
	v_div_scale_f32 v76, vcc_lo, v67, v41, v67
	v_rcp_f32_e32 v70, v69
	s_waitcnt_depctr 0xfff
	v_fma_f32 v75, -v69, v70, 1.0
	s_delay_alu instid0(VALU_DEP_1) | instskip(NEXT) | instid1(VALU_DEP_1)
	v_fmac_f32_e32 v70, v75, v70
	v_mul_f32_e32 v75, v76, v70
	s_delay_alu instid0(VALU_DEP_1) | instskip(NEXT) | instid1(VALU_DEP_1)
	v_fma_f32 v77, -v69, v75, v76
	v_fmac_f32_e32 v75, v77, v70
	s_delay_alu instid0(VALU_DEP_1) | instskip(NEXT) | instid1(VALU_DEP_1)
	v_fma_f32 v69, -v69, v75, v76
	v_div_fmas_f32 v69, v69, v70, v75
	s_delay_alu instid0(VALU_DEP_1) | instskip(SKIP_1) | instid1(VALU_DEP_2)
	v_div_fixup_f32 v67, v69, v41, v67
	v_mul_f32_e32 v69, v14, v72
	v_add_f32_e32 v67, v67, v40
	s_delay_alu instid0(VALU_DEP_1) | instskip(SKIP_1) | instid1(VALU_DEP_2)
	v_div_scale_f32 v70, null, v67, v67, v69
	v_div_scale_f32 v77, vcc_lo, v69, v67, v69
	v_rcp_f32_e32 v75, v70
	s_waitcnt_depctr 0xfff
	v_fma_f32 v76, -v70, v75, 1.0
	s_delay_alu instid0(VALU_DEP_1) | instskip(NEXT) | instid1(VALU_DEP_1)
	v_fmac_f32_e32 v75, v76, v75
	v_mul_f32_e32 v76, v77, v75
	s_delay_alu instid0(VALU_DEP_1) | instskip(NEXT) | instid1(VALU_DEP_1)
	v_fma_f32 v78, -v70, v76, v77
	v_fmac_f32_e32 v76, v78, v75
	s_delay_alu instid0(VALU_DEP_1) | instskip(SKIP_1) | instid1(VALU_DEP_2)
	v_fma_f32 v70, -v70, v76, v77
	v_fma_f32 v77, -v3, v58, v58
	v_div_fmas_f32 v70, v70, v75, v76
	s_delay_alu instid0(VALU_DEP_2) | instskip(NEXT) | instid1(VALU_DEP_2)
	v_cndmask_b32_e64 v58, v58, v77, s0
	v_div_fixup_f32 v67, v70, v67, v69
	v_add_co_u32 v69, vcc_lo, v26, s8
	v_add_co_ci_u32_e32 v70, vcc_lo, s9, v27, vcc_lo
	s_delay_alu instid0(VALU_DEP_3)
	v_sub_f32_e32 v58, v58, v67
	global_store_b32 v[69:70], v58, off
.LBB2_61:                               ;   in Loop: Header=BB2_26 Depth=1
	s_or_b32 exec_lo, exec_lo, s19
	v_cndmask_b32_e64 v58, v57, -v57, s33
	s_delay_alu instid0(VALU_DEP_1) | instskip(SKIP_2) | instid1(VALU_DEP_3)
	v_mul_f32_e32 v67, v58, v58
	v_fma_f32 v69, -v38, v58, v58
	v_max_f32_e32 v58, v73, v73
	v_fma_f32 v67, -v39, v67, v67
	s_delay_alu instid0(VALU_DEP_3) | instskip(NEXT) | instid1(VALU_DEP_2)
	v_fmac_f32_e32 v69, v38, v64
	v_fmac_f32_e32 v67, v39, v68
	s_delay_alu instid0(VALU_DEP_1)
	v_max_f32_e32 v58, v58, v67
	s_and_saveexec_b32 s19, s4
	s_cbranch_execz .LBB2_63
; %bb.62:                               ;   in Loop: Header=BB2_26 Depth=1
	s_delay_alu instid0(VALU_DEP_1) | instskip(SKIP_1) | instid1(VALU_DEP_2)
	v_mul_f32_e32 v64, 0x4f800000, v58
	v_cmp_gt_f32_e32 vcc_lo, 0xf800000, v58
	v_cndmask_b32_e32 v64, v58, v64, vcc_lo
	s_delay_alu instid0(VALU_DEP_1) | instskip(SKIP_3) | instid1(VALU_DEP_2)
	v_sqrt_f32_e32 v68, v64
	s_waitcnt_depctr 0xfff
	v_add_nc_u32_e32 v70, -1, v68
	v_add_nc_u32_e32 v73, 1, v68
	v_fma_f32 v75, -v70, v68, v64
	s_delay_alu instid0(VALU_DEP_2) | instskip(NEXT) | instid1(VALU_DEP_2)
	v_fma_f32 v76, -v73, v68, v64
	v_cmp_ge_f32_e64 s5, 0, v75
	s_delay_alu instid0(VALU_DEP_1) | instskip(NEXT) | instid1(VALU_DEP_3)
	v_cndmask_b32_e64 v68, v68, v70, s5
	v_cmp_lt_f32_e64 s5, 0, v76
	s_delay_alu instid0(VALU_DEP_1) | instskip(NEXT) | instid1(VALU_DEP_1)
	v_cndmask_b32_e64 v68, v68, v73, s5
	v_mul_f32_e32 v70, 0x37800000, v68
	s_delay_alu instid0(VALU_DEP_1) | instskip(SKIP_1) | instid1(VALU_DEP_2)
	v_cndmask_b32_e32 v68, v68, v70, vcc_lo
	v_cmp_class_f32_e64 vcc_lo, v64, 0x260
	v_cndmask_b32_e32 v64, v68, v64, vcc_lo
	s_delay_alu instid0(VALU_DEP_1) | instskip(SKIP_1) | instid1(VALU_DEP_2)
	v_div_scale_f32 v68, null, v41, v41, v64
	v_div_scale_f32 v75, vcc_lo, v64, v41, v64
	v_rcp_f32_e32 v70, v68
	s_waitcnt_depctr 0xfff
	v_fma_f32 v73, -v68, v70, 1.0
	s_delay_alu instid0(VALU_DEP_1) | instskip(NEXT) | instid1(VALU_DEP_1)
	v_fmac_f32_e32 v70, v73, v70
	v_mul_f32_e32 v73, v75, v70
	s_delay_alu instid0(VALU_DEP_1) | instskip(NEXT) | instid1(VALU_DEP_1)
	v_fma_f32 v76, -v68, v73, v75
	v_fmac_f32_e32 v73, v76, v70
	s_delay_alu instid0(VALU_DEP_1) | instskip(NEXT) | instid1(VALU_DEP_1)
	v_fma_f32 v68, -v68, v73, v75
	v_div_fmas_f32 v68, v68, v70, v73
	s_delay_alu instid0(VALU_DEP_1) | instskip(SKIP_1) | instid1(VALU_DEP_2)
	v_div_fixup_f32 v64, v68, v41, v64
	v_mul_f32_e32 v68, v14, v69
	v_add_f32_e32 v64, v64, v40
	s_delay_alu instid0(VALU_DEP_1) | instskip(SKIP_1) | instid1(VALU_DEP_2)
	v_div_scale_f32 v70, null, v64, v64, v68
	v_div_scale_f32 v76, vcc_lo, v68, v64, v68
	v_rcp_f32_e32 v73, v70
	s_waitcnt_depctr 0xfff
	v_fma_f32 v75, -v70, v73, 1.0
	s_delay_alu instid0(VALU_DEP_1) | instskip(NEXT) | instid1(VALU_DEP_1)
	v_fmac_f32_e32 v73, v75, v73
	v_mul_f32_e32 v75, v76, v73
	s_delay_alu instid0(VALU_DEP_1) | instskip(NEXT) | instid1(VALU_DEP_1)
	v_fma_f32 v77, -v70, v75, v76
	v_fmac_f32_e32 v75, v77, v73
	s_delay_alu instid0(VALU_DEP_1) | instskip(SKIP_1) | instid1(VALU_DEP_2)
	v_fma_f32 v70, -v70, v75, v76
	v_fma_f32 v76, -v3, v60, v60
	v_div_fmas_f32 v70, v70, v73, v75
	s_delay_alu instid0(VALU_DEP_2) | instskip(SKIP_2) | instid1(VALU_DEP_4)
	v_cndmask_b32_e64 v60, v60, v76, s0
	v_add_co_u32 v75, vcc_lo, v15, s8
	v_add_co_ci_u32_e32 v76, vcc_lo, s9, v16, vcc_lo
	v_div_fixup_f32 v64, v70, v64, v68
	s_delay_alu instid0(VALU_DEP_1)
	v_sub_f32_e32 v60, v60, v64
	global_store_b32 v[75:76], v60, off
.LBB2_63:                               ;   in Loop: Header=BB2_26 Depth=1
	s_or_b32 exec_lo, exec_lo, s19
	s_delay_alu instid0(SALU_CYCLE_1)
	s_and_not1_b32 vcc_lo, exec_lo, s16
	s_cbranch_vccnz .LBB2_70
; %bb.64:                               ;   in Loop: Header=BB2_26 Depth=1
	s_and_saveexec_b32 s5, s1
	s_cbranch_execnz .LBB2_97
; %bb.65:                               ;   in Loop: Header=BB2_26 Depth=1
	s_or_b32 exec_lo, exec_lo, s5
	s_and_saveexec_b32 s5, s2
	s_cbranch_execnz .LBB2_98
.LBB2_66:                               ;   in Loop: Header=BB2_26 Depth=1
	s_or_b32 exec_lo, exec_lo, s5
	s_and_saveexec_b32 s5, s3
	s_cbranch_execnz .LBB2_99
.LBB2_67:                               ;   in Loop: Header=BB2_26 Depth=1
	s_or_b32 exec_lo, exec_lo, s5
	s_and_saveexec_b32 s5, s4
	s_cbranch_execz .LBB2_69
.LBB2_68:                               ;   in Loop: Header=BB2_26 Depth=1
	v_add_co_u32 v54, vcc_lo, v17, s8
	v_add_co_ci_u32_e32 v55, vcc_lo, s9, v18, vcc_lo
	global_store_b32 v[54:55], v57, off
.LBB2_69:                               ;   in Loop: Header=BB2_26 Depth=1
	s_or_b32 exec_lo, exec_lo, s5
.LBB2_70:                               ;   in Loop: Header=BB2_26 Depth=1
	s_and_saveexec_b32 s5, s1
	s_cbranch_execnz .LBB2_85
; %bb.71:                               ;   in Loop: Header=BB2_26 Depth=1
	s_or_b32 exec_lo, exec_lo, s5
	s_and_saveexec_b32 s5, s2
	s_cbranch_execnz .LBB2_86
.LBB2_72:                               ;   in Loop: Header=BB2_26 Depth=1
	s_or_b32 exec_lo, exec_lo, s5
	s_and_saveexec_b32 s5, s3
	s_cbranch_execnz .LBB2_87
.LBB2_73:                               ;   in Loop: Header=BB2_26 Depth=1
	s_or_b32 exec_lo, exec_lo, s5
	s_and_saveexec_b32 s5, s4
	s_cbranch_execnz .LBB2_88
.LBB2_74:                               ;   in Loop: Header=BB2_26 Depth=1
	s_or_b32 exec_lo, exec_lo, s5
	s_and_saveexec_b32 s5, s1
	s_cbranch_execnz .LBB2_89
.LBB2_75:                               ;   in Loop: Header=BB2_26 Depth=1
	s_or_b32 exec_lo, exec_lo, s5
	s_and_saveexec_b32 s5, s2
	s_cbranch_execnz .LBB2_90
.LBB2_76:                               ;   in Loop: Header=BB2_26 Depth=1
	s_or_b32 exec_lo, exec_lo, s5
	s_and_saveexec_b32 s5, s3
	s_cbranch_execnz .LBB2_91
.LBB2_77:                               ;   in Loop: Header=BB2_26 Depth=1
	s_or_b32 exec_lo, exec_lo, s5
	s_and_saveexec_b32 s5, s4
	s_cbranch_execnz .LBB2_92
.LBB2_78:                               ;   in Loop: Header=BB2_26 Depth=1
	s_or_b32 exec_lo, exec_lo, s5
	s_and_saveexec_b32 s5, s1
	s_cbranch_execnz .LBB2_93
.LBB2_79:                               ;   in Loop: Header=BB2_26 Depth=1
	s_or_b32 exec_lo, exec_lo, s5
	s_and_saveexec_b32 s1, s2
	s_cbranch_execnz .LBB2_94
.LBB2_80:                               ;   in Loop: Header=BB2_26 Depth=1
	s_or_b32 exec_lo, exec_lo, s1
	s_and_saveexec_b32 s1, s3
	s_cbranch_execnz .LBB2_95
.LBB2_81:                               ;   in Loop: Header=BB2_26 Depth=1
	s_or_b32 exec_lo, exec_lo, s1
	s_and_saveexec_b32 s1, s4
	s_cbranch_execz .LBB2_25
	s_branch .LBB2_96
.LBB2_82:                               ;   in Loop: Header=BB2_26 Depth=1
	v_add_co_u32 v76, vcc_lo, v15, s8
	v_add_co_ci_u32_e32 v77, vcc_lo, s9, v16, vcc_lo
	v_add_co_u32 v78, vcc_lo, v17, s8
	v_add_co_ci_u32_e32 v79, vcc_lo, s9, v18, vcc_lo
	global_load_b32 v60, v[76:77], off
	global_load_b32 v57, v[78:79], off
	s_or_b32 exec_lo, exec_lo, s5
	v_mov_b32_e32 v68, 0
	s_and_saveexec_b32 s5, s4
	s_cbranch_execz .LBB2_46
.LBB2_83:                               ;   in Loop: Header=BB2_26 Depth=1
	v_add_co_u32 v63, vcc_lo, v19, s8
	v_add_co_ci_u32_e32 v64, vcc_lo, s9, v20, vcc_lo
	v_add_co_u32 v76, vcc_lo, v21, s8
	v_add_co_ci_u32_e32 v77, vcc_lo, s9, v22, vcc_lo
	global_load_b32 v64, v[63:64], off
	global_load_b32 v68, v[76:77], off
	s_or_b32 exec_lo, exec_lo, s5
	v_mov_b32_e32 v73, 0
	s_and_saveexec_b32 s5, s4
	s_cbranch_execz .LBB2_47
.LBB2_84:                               ;   in Loop: Header=BB2_26 Depth=1
	v_add_co_u32 v76, vcc_lo, v23, s8
	v_add_co_ci_u32_e32 v77, vcc_lo, s9, v24, vcc_lo
	global_load_b32 v73, v[76:77], off
	s_or_b32 exec_lo, exec_lo, s5
	s_delay_alu instid0(SALU_CYCLE_1)
	s_and_not1_b32 vcc_lo, exec_lo, s16
	s_cbranch_vccz .LBB2_48
	s_branch .LBB2_49
.LBB2_85:                               ;   in Loop: Header=BB2_26 Depth=1
	v_add_co_u32 v54, vcc_lo, v8, s8
	v_add_co_ci_u32_e32 v55, vcc_lo, s9, v9, vcc_lo
	global_store_b32 v[54:55], v66, off
	s_or_b32 exec_lo, exec_lo, s5
	s_and_saveexec_b32 s5, s2
	s_cbranch_execz .LBB2_72
.LBB2_86:                               ;   in Loop: Header=BB2_26 Depth=1
	v_add_co_u32 v54, vcc_lo, v48, s8
	v_add_co_ci_u32_e32 v55, vcc_lo, s9, v49, vcc_lo
	global_store_b32 v[54:55], v74, off
	s_or_b32 exec_lo, exec_lo, s5
	s_and_saveexec_b32 s5, s3
	s_cbranch_execz .LBB2_73
.LBB2_87:                               ;   in Loop: Header=BB2_26 Depth=1
	v_add_co_u32 v54, vcc_lo, v30, s8
	v_add_co_ci_u32_e32 v55, vcc_lo, s9, v31, vcc_lo
	global_store_b32 v[54:55], v72, off
	s_or_b32 exec_lo, exec_lo, s5
	s_and_saveexec_b32 s5, s4
	s_cbranch_execz .LBB2_74
.LBB2_88:                               ;   in Loop: Header=BB2_26 Depth=1
	v_add_co_u32 v54, vcc_lo, v19, s8
	v_add_co_ci_u32_e32 v55, vcc_lo, s9, v20, vcc_lo
	global_store_b32 v[54:55], v69, off
	s_or_b32 exec_lo, exec_lo, s5
	s_and_saveexec_b32 s5, s1
	s_cbranch_execz .LBB2_75
.LBB2_89:                               ;   in Loop: Header=BB2_26 Depth=1
	v_add_co_u32 v54, vcc_lo, v10, s8
	v_add_co_ci_u32_e32 v55, vcc_lo, s9, v11, vcc_lo
	global_store_b32 v[54:55], v63, off
	s_or_b32 exec_lo, exec_lo, s5
	s_and_saveexec_b32 s5, s2
	s_cbranch_execz .LBB2_76
.LBB2_90:                               ;   in Loop: Header=BB2_26 Depth=1
	v_add_co_u32 v54, vcc_lo, v50, s8
	v_add_co_ci_u32_e32 v55, vcc_lo, s9, v51, vcc_lo
	global_store_b32 v[54:55], v71, off
	s_or_b32 exec_lo, exec_lo, s5
	s_and_saveexec_b32 s5, s3
	s_cbranch_execz .LBB2_77
.LBB2_91:                               ;   in Loop: Header=BB2_26 Depth=1
	v_add_co_u32 v54, vcc_lo, v32, s8
	v_add_co_ci_u32_e32 v55, vcc_lo, s9, v33, vcc_lo
	global_store_b32 v[54:55], v65, off
	s_or_b32 exec_lo, exec_lo, s5
	s_and_saveexec_b32 s5, s4
	s_cbranch_execz .LBB2_78
.LBB2_92:                               ;   in Loop: Header=BB2_26 Depth=1
	v_add_co_u32 v54, vcc_lo, v21, s8
	v_add_co_ci_u32_e32 v55, vcc_lo, s9, v22, vcc_lo
	global_store_b32 v[54:55], v67, off
	s_or_b32 exec_lo, exec_lo, s5
	s_and_saveexec_b32 s5, s1
	s_cbranch_execz .LBB2_79
.LBB2_93:                               ;   in Loop: Header=BB2_26 Depth=1
	v_add_co_u32 v54, vcc_lo, v12, s8
	v_add_co_ci_u32_e32 v55, vcc_lo, s9, v13, vcc_lo
	global_store_b32 v[54:55], v59, off
	s_or_b32 exec_lo, exec_lo, s5
	s_and_saveexec_b32 s1, s2
	s_cbranch_execz .LBB2_80
.LBB2_94:                               ;   in Loop: Header=BB2_26 Depth=1
	v_add_co_u32 v54, vcc_lo, v52, s8
	v_add_co_ci_u32_e32 v55, vcc_lo, s9, v53, vcc_lo
	global_store_b32 v[54:55], v62, off
	s_or_b32 exec_lo, exec_lo, s1
	s_and_saveexec_b32 s1, s3
	s_cbranch_execz .LBB2_81
.LBB2_95:                               ;   in Loop: Header=BB2_26 Depth=1
	v_add_co_u32 v54, vcc_lo, v35, s8
	v_add_co_ci_u32_e32 v55, vcc_lo, s9, v36, vcc_lo
	global_store_b32 v[54:55], v61, off
	s_or_b32 exec_lo, exec_lo, s1
	s_and_saveexec_b32 s1, s4
	s_cbranch_execz .LBB2_25
.LBB2_96:                               ;   in Loop: Header=BB2_26 Depth=1
	v_add_co_u32 v54, vcc_lo, v23, s8
	v_add_co_ci_u32_e32 v55, vcc_lo, s9, v24, vcc_lo
	global_store_b32 v[54:55], v58, off
	s_branch .LBB2_25
.LBB2_97:                               ;   in Loop: Header=BB2_26 Depth=1
	v_add_co_u32 v75, vcc_lo, v6, s8
	v_add_co_ci_u32_e32 v76, vcc_lo, s9, v7, vcc_lo
	global_store_b32 v[75:76], v54, off
	s_or_b32 exec_lo, exec_lo, s5
	s_and_saveexec_b32 s5, s2
	s_cbranch_execz .LBB2_66
.LBB2_98:                               ;   in Loop: Header=BB2_26 Depth=1
	v_add_co_u32 v75, vcc_lo, v46, s8
	v_add_co_ci_u32_e32 v76, vcc_lo, s9, v47, vcc_lo
	global_store_b32 v[75:76], v55, off
	s_or_b32 exec_lo, exec_lo, s5
	s_and_saveexec_b32 s5, s3
	s_cbranch_execz .LBB2_67
.LBB2_99:                               ;   in Loop: Header=BB2_26 Depth=1
	v_add_co_u32 v54, vcc_lo, v28, s8
	v_add_co_ci_u32_e32 v55, vcc_lo, s9, v29, vcc_lo
	global_store_b32 v[54:55], v56, off
	s_or_b32 exec_lo, exec_lo, s5
	s_and_saveexec_b32 s5, s4
	s_cbranch_execnz .LBB2_68
	s_branch .LBB2_69
.LBB2_100:
	s_nop 0
	s_sendmsg sendmsg(MSG_DEALLOC_VGPRS)
	s_endpgm
	.section	.rodata,"a",@progbits
	.p2align	6, 0x0
	.amdhsa_kernel _ZN2at6native12_GLOBAL__N_125multi_tensor_apply_kernelINS1_32FusedOptimizerTensorListMetadataILi5EEENS1_20FusedAdamMathFunctorIfLi5ELNS0_9ADAM_MODEE1ELb1EEEJPKfdddddbS9_S9_EEEvT_T0_DpT1_
		.amdhsa_group_segment_fixed_size 0
		.amdhsa_private_segment_fixed_size 0
		.amdhsa_kernarg_size 3624
		.amdhsa_user_sgpr_count 15
		.amdhsa_user_sgpr_dispatch_ptr 0
		.amdhsa_user_sgpr_queue_ptr 0
		.amdhsa_user_sgpr_kernarg_segment_ptr 1
		.amdhsa_user_sgpr_dispatch_id 0
		.amdhsa_user_sgpr_private_segment_size 0
		.amdhsa_wavefront_size32 1
		.amdhsa_uses_dynamic_stack 0
		.amdhsa_enable_private_segment 0
		.amdhsa_system_sgpr_workgroup_id_x 1
		.amdhsa_system_sgpr_workgroup_id_y 0
		.amdhsa_system_sgpr_workgroup_id_z 0
		.amdhsa_system_sgpr_workgroup_info 0
		.amdhsa_system_vgpr_workitem_id 0
		.amdhsa_next_free_vgpr 81
		.amdhsa_next_free_sgpr 39
		.amdhsa_reserve_vcc 1
		.amdhsa_float_round_mode_32 0
		.amdhsa_float_round_mode_16_64 0
		.amdhsa_float_denorm_mode_32 3
		.amdhsa_float_denorm_mode_16_64 3
		.amdhsa_dx10_clamp 1
		.amdhsa_ieee_mode 1
		.amdhsa_fp16_overflow 0
		.amdhsa_workgroup_processor_mode 1
		.amdhsa_memory_ordered 1
		.amdhsa_forward_progress 0
		.amdhsa_shared_vgpr_count 0
		.amdhsa_exception_fp_ieee_invalid_op 0
		.amdhsa_exception_fp_denorm_src 0
		.amdhsa_exception_fp_ieee_div_zero 0
		.amdhsa_exception_fp_ieee_overflow 0
		.amdhsa_exception_fp_ieee_underflow 0
		.amdhsa_exception_fp_ieee_inexact 0
		.amdhsa_exception_int_div_zero 0
	.end_amdhsa_kernel
	.section	.text._ZN2at6native12_GLOBAL__N_125multi_tensor_apply_kernelINS1_32FusedOptimizerTensorListMetadataILi5EEENS1_20FusedAdamMathFunctorIfLi5ELNS0_9ADAM_MODEE1ELb1EEEJPKfdddddbS9_S9_EEEvT_T0_DpT1_,"axG",@progbits,_ZN2at6native12_GLOBAL__N_125multi_tensor_apply_kernelINS1_32FusedOptimizerTensorListMetadataILi5EEENS1_20FusedAdamMathFunctorIfLi5ELNS0_9ADAM_MODEE1ELb1EEEJPKfdddddbS9_S9_EEEvT_T0_DpT1_,comdat
.Lfunc_end2:
	.size	_ZN2at6native12_GLOBAL__N_125multi_tensor_apply_kernelINS1_32FusedOptimizerTensorListMetadataILi5EEENS1_20FusedAdamMathFunctorIfLi5ELNS0_9ADAM_MODEE1ELb1EEEJPKfdddddbS9_S9_EEEvT_T0_DpT1_, .Lfunc_end2-_ZN2at6native12_GLOBAL__N_125multi_tensor_apply_kernelINS1_32FusedOptimizerTensorListMetadataILi5EEENS1_20FusedAdamMathFunctorIfLi5ELNS0_9ADAM_MODEE1ELb1EEEJPKfdddddbS9_S9_EEEvT_T0_DpT1_
                                        ; -- End function
	.section	.AMDGPU.csdata,"",@progbits
; Kernel info:
; codeLenInByte = 10060
; NumSgprs: 41
; NumVgprs: 81
; ScratchSize: 0
; MemoryBound: 0
; FloatMode: 240
; IeeeMode: 1
; LDSByteSize: 0 bytes/workgroup (compile time only)
; SGPRBlocks: 5
; VGPRBlocks: 10
; NumSGPRsForWavesPerEU: 41
; NumVGPRsForWavesPerEU: 81
; Occupancy: 16
; WaveLimiterHint : 0
; COMPUTE_PGM_RSRC2:SCRATCH_EN: 0
; COMPUTE_PGM_RSRC2:USER_SGPR: 15
; COMPUTE_PGM_RSRC2:TRAP_HANDLER: 0
; COMPUTE_PGM_RSRC2:TGID_X_EN: 1
; COMPUTE_PGM_RSRC2:TGID_Y_EN: 0
; COMPUTE_PGM_RSRC2:TGID_Z_EN: 0
; COMPUTE_PGM_RSRC2:TIDIG_COMP_CNT: 0
	.section	.text._ZN2at6native12_GLOBAL__N_125multi_tensor_apply_kernelINS1_32FusedOptimizerTensorListMetadataILi5EEENS1_20FusedAdamMathFunctorIN3c104HalfELi5ELNS0_9ADAM_MODEE1ELb1EEEJPKfdddddbSB_SB_EEEvT_T0_DpT1_,"axG",@progbits,_ZN2at6native12_GLOBAL__N_125multi_tensor_apply_kernelINS1_32FusedOptimizerTensorListMetadataILi5EEENS1_20FusedAdamMathFunctorIN3c104HalfELi5ELNS0_9ADAM_MODEE1ELb1EEEJPKfdddddbSB_SB_EEEvT_T0_DpT1_,comdat
	.globl	_ZN2at6native12_GLOBAL__N_125multi_tensor_apply_kernelINS1_32FusedOptimizerTensorListMetadataILi5EEENS1_20FusedAdamMathFunctorIN3c104HalfELi5ELNS0_9ADAM_MODEE1ELb1EEEJPKfdddddbSB_SB_EEEvT_T0_DpT1_ ; -- Begin function _ZN2at6native12_GLOBAL__N_125multi_tensor_apply_kernelINS1_32FusedOptimizerTensorListMetadataILi5EEENS1_20FusedAdamMathFunctorIN3c104HalfELi5ELNS0_9ADAM_MODEE1ELb1EEEJPKfdddddbSB_SB_EEEvT_T0_DpT1_
	.p2align	8
	.type	_ZN2at6native12_GLOBAL__N_125multi_tensor_apply_kernelINS1_32FusedOptimizerTensorListMetadataILi5EEENS1_20FusedAdamMathFunctorIN3c104HalfELi5ELNS0_9ADAM_MODEE1ELb1EEEJPKfdddddbSB_SB_EEEvT_T0_DpT1_,@function
_ZN2at6native12_GLOBAL__N_125multi_tensor_apply_kernelINS1_32FusedOptimizerTensorListMetadataILi5EEENS1_20FusedAdamMathFunctorIN3c104HalfELi5ELNS0_9ADAM_MODEE1ELb1EEEJPKfdddddbSB_SB_EEEvT_T0_DpT1_: ; @_ZN2at6native12_GLOBAL__N_125multi_tensor_apply_kernelINS1_32FusedOptimizerTensorListMetadataILi5EEENS1_20FusedAdamMathFunctorIN3c104HalfELi5ELNS0_9ADAM_MODEE1ELb1EEEJPKfdddddbSB_SB_EEEvT_T0_DpT1_
; %bb.0:
	v_mov_b32_e32 v1, s15
	s_add_u32 s3, s0, s15
	s_mul_hi_u32 s12, s15, 3
	s_mul_i32 s15, s15, 3
	s_addc_u32 s13, s1, 0
	global_load_u8 v1, v1, s[0:1] offset:1680
	s_clause 0x1
	s_load_b256 s[4:11], s[0:1], 0xce0
	s_load_b128 s[16:19], s[0:1], 0xd00
	s_add_u32 s20, s3, s15
	s_addc_u32 s21, s13, s12
	s_mov_b32 s3, 0
	s_waitcnt lgkmcnt(0)
	s_cmp_eq_u64 s[4:5], 0
	s_waitcnt vmcnt(0)
	v_readfirstlane_b32 s2, v1
	s_cbranch_scc1 .LBB3_20
; %bb.1:
	s_load_b32 s4, s[4:5], 0x0
	s_waitcnt lgkmcnt(0)
	v_mov_b32_e32 v29, s4
	s_and_not1_b32 vcc_lo, exec_lo, s3
	s_cbranch_vccnz .LBB3_3
.LBB3_2:
	v_cvt_f32_f64_e32 v29, s[6:7]
.LBB3_3:
	s_load_b128 s[12:15], s[0:1], 0xd18
	s_waitcnt lgkmcnt(0)
	s_cmp_eq_u64 s[14:15], 0
	s_cselect_b32 s3, -1, 0
	s_delay_alu instid0(SALU_CYCLE_1)
	s_and_b32 vcc_lo, exec_lo, s3
	s_cbranch_vccnz .LBB3_5
; %bb.4:
	s_load_b32 s3, s[14:15], 0x0
	s_waitcnt lgkmcnt(0)
	v_cmp_neq_f32_e64 s3, s3, 1.0
.LBB3_5:
	s_delay_alu instid0(VALU_DEP_1)
	s_and_not1_b32 vcc_lo, exec_lo, s3
	s_cbranch_vccnz .LBB3_100
; %bb.6:
	s_load_b32 s3, s[0:1], 0xd10
	v_cvt_f32_f64_e32 v25, s[8:9]
	v_cvt_f32_f64_e32 v26, s[10:11]
	s_mov_b32 s8, 0x3e76c4e1
	s_mov_b32 s31, 0
	s_waitcnt lgkmcnt(0)
	s_bitcmp1_b32 s3, 0
	s_cselect_b32 s33, -1, 0
	s_and_b32 s2, s2, 0xff
	s_delay_alu instid0(SALU_CYCLE_1)
	s_lshl_b32 s30, s2, 3
	s_clause 0x1
	s_load_b64 s[2:3], s[0:1], s30 offset:0x5a0
	s_load_b64 s[28:29], s[0:1], s30 offset:0x4b0
	s_waitcnt lgkmcnt(0)
	s_load_b32 s7, s[2:3], 0x0
	s_delay_alu instid0(VALU_DEP_2) | instskip(NEXT) | instid1(VALU_DEP_2)
	v_cmp_eq_f32_e64 s3, 1.0, v25
	v_cmp_eq_f32_e64 s4, 1.0, v26
	s_clause 0x4
	s_load_b32 s26, s[20:21], 0x7d0
	s_load_b64 s[14:15], s[0:1], s30 offset:0x0
	s_load_b64 s[20:21], s[0:1], s30 offset:0xf0
	;; [unrolled: 1-line block ×4, first 2 shown]
	s_waitcnt lgkmcnt(0)
	v_cndmask_b32_e64 v5, s7, 1.0, s3
	v_cndmask_b32_e64 v6, s7, 1.0, s4
	s_ashr_i32 s27, s26, 31
	s_delay_alu instid0(VALU_DEP_2) | instskip(NEXT) | instid1(VALU_DEP_2)
	v_cmp_eq_f32_e64 s2, 0, v5
	v_cmp_eq_f32_e32 vcc_lo, 0, v6
	s_lshl_b64 s[34:35], s[26:27], 16
	s_delay_alu instid0(VALU_DEP_2) | instskip(SKIP_1) | instid1(VALU_DEP_2)
	v_cndmask_b32_e64 v7, |v25|, 1.0, s2
	v_cndmask_b32_e64 v8, |v26|, 1.0, vcc_lo
	v_frexp_mant_f32_e32 v1, v7
	s_delay_alu instid0(VALU_DEP_2) | instskip(SKIP_1) | instid1(VALU_DEP_3)
	v_frexp_mant_f32_e32 v2, v8
	v_cmp_eq_f32_e64 s10, 0x7f800000, v8
	v_cmp_gt_f32_e64 s5, 0x3f2aaaab, v1
	s_delay_alu instid0(VALU_DEP_3) | instskip(NEXT) | instid1(VALU_DEP_2)
	v_cmp_gt_f32_e64 s6, 0x3f2aaaab, v2
	v_cndmask_b32_e64 v3, 1.0, 2.0, s5
	s_delay_alu instid0(VALU_DEP_2) | instskip(NEXT) | instid1(VALU_DEP_1)
	v_cndmask_b32_e64 v4, 1.0, 2.0, s6
	v_dual_mul_f32 v1, v1, v3 :: v_dual_mul_f32 v2, v2, v4
	s_delay_alu instid0(VALU_DEP_1) | instskip(SKIP_1) | instid1(VALU_DEP_2)
	v_dual_add_f32 v3, 1.0, v1 :: v_dual_add_f32 v4, 1.0, v2
	v_dual_add_f32 v11, -1.0, v1 :: v_dual_add_f32 v12, -1.0, v2
	v_rcp_f32_e32 v9, v3
	s_delay_alu instid0(VALU_DEP_2) | instskip(SKIP_3) | instid1(VALU_DEP_2)
	v_rcp_f32_e32 v10, v4
	s_waitcnt_depctr 0xfff
	v_dual_mul_f32 v13, v11, v9 :: v_dual_mul_f32 v14, v12, v10
	v_add_f32_e32 v15, -1.0, v3
	v_dual_add_f32 v17, -1.0, v4 :: v_dual_mul_f32 v16, v3, v13
	s_delay_alu instid0(VALU_DEP_2) | instskip(NEXT) | instid1(VALU_DEP_2)
	v_dual_mul_f32 v18, v4, v14 :: v_dual_sub_f32 v1, v1, v15
	v_sub_f32_e32 v2, v2, v17
	s_delay_alu instid0(VALU_DEP_3) | instskip(NEXT) | instid1(VALU_DEP_3)
	v_fma_f32 v3, v13, v3, -v16
	v_fma_f32 v4, v14, v4, -v18
	s_delay_alu instid0(VALU_DEP_1) | instskip(NEXT) | instid1(VALU_DEP_1)
	v_dual_fmac_f32 v3, v13, v1 :: v_dual_fmac_f32 v4, v14, v2
	v_dual_add_f32 v1, v16, v3 :: v_dual_add_f32 v2, v18, v4
	s_delay_alu instid0(VALU_DEP_1) | instskip(NEXT) | instid1(VALU_DEP_2)
	v_dual_sub_f32 v15, v11, v1 :: v_dual_sub_f32 v16, v1, v16
	v_sub_f32_e32 v18, v2, v18
	v_sub_f32_e32 v17, v12, v2
	s_delay_alu instid0(VALU_DEP_2) | instskip(NEXT) | instid1(VALU_DEP_4)
	v_dual_sub_f32 v11, v11, v15 :: v_dual_sub_f32 v4, v18, v4
	v_sub_f32_e32 v3, v16, v3
	s_delay_alu instid0(VALU_DEP_2) | instskip(NEXT) | instid1(VALU_DEP_1)
	v_sub_f32_e32 v1, v11, v1
	v_add_f32_e32 v1, v3, v1
	s_delay_alu instid0(VALU_DEP_1) | instskip(NEXT) | instid1(VALU_DEP_1)
	v_add_f32_e32 v1, v15, v1
	v_mul_f32_e32 v9, v9, v1
	s_delay_alu instid0(VALU_DEP_1) | instskip(NEXT) | instid1(VALU_DEP_1)
	v_add_f32_e32 v11, v13, v9
	v_dual_sub_f32 v12, v12, v17 :: v_dual_mul_f32 v15, v11, v11
	s_delay_alu instid0(VALU_DEP_1) | instskip(NEXT) | instid1(VALU_DEP_1)
	v_sub_f32_e32 v2, v12, v2
	v_add_f32_e32 v2, v4, v2
	v_cvt_f64_f32_e32 v[3:4], v8
	s_delay_alu instid0(VALU_DEP_2) | instskip(NEXT) | instid1(VALU_DEP_1)
	v_add_f32_e32 v2, v17, v2
	v_mul_f32_e32 v10, v10, v2
	v_cvt_f64_f32_e32 v[1:2], v7
	s_delay_alu instid0(VALU_DEP_2) | instskip(NEXT) | instid1(VALU_DEP_1)
	v_add_f32_e32 v12, v14, v10
	v_dual_sub_f32 v14, v12, v14 :: v_dual_sub_f32 v13, v11, v13
	s_delay_alu instid0(VALU_DEP_1) | instskip(SKIP_1) | instid1(VALU_DEP_2)
	v_dual_sub_f32 v10, v10, v14 :: v_dual_sub_f32 v9, v9, v13
	v_fma_f32 v14, v11, v11, -v15
	v_dual_add_f32 v18, v10, v10 :: v_dual_mul_f32 v13, v12, v12
	s_delay_alu instid0(VALU_DEP_3) | instskip(NEXT) | instid1(VALU_DEP_2)
	v_add_f32_e32 v16, v9, v9
	v_fma_f32 v17, v12, v12, -v13
	s_delay_alu instid0(VALU_DEP_2) | instskip(SKIP_1) | instid1(VALU_DEP_3)
	v_fmac_f32_e32 v14, v11, v16
	v_frexp_exp_i32_f64_e32 v3, v[3:4]
	v_fmac_f32_e32 v17, v12, v18
	s_delay_alu instid0(VALU_DEP_1) | instskip(NEXT) | instid1(VALU_DEP_4)
	v_add_f32_e32 v18, v13, v17
	v_add_f32_e32 v16, v15, v14
	v_frexp_exp_i32_f64_e32 v1, v[1:2]
	s_delay_alu instid0(VALU_DEP_3) | instskip(NEXT) | instid1(VALU_DEP_3)
	v_sub_f32_e32 v13, v18, v13
	v_dual_fmaak_f32 v19, s8, v16, 0x3e91f4c4 :: v_dual_fmaak_f32 v20, s8, v18, 0x3e91f4c4
	v_sub_f32_e32 v15, v16, v15
	v_cmp_eq_f32_e64 s8, 0x7f800000, v7
	s_delay_alu instid0(VALU_DEP_3) | instskip(SKIP_1) | instid1(VALU_DEP_2)
	v_dual_fmaak_f32 v19, v16, v19, 0x3ecccdef :: v_dual_fmaak_f32 v2, v18, v20, 0x3ecccdef
	v_sub_f32_e32 v4, v17, v13
	v_dual_mul_f32 v20, v16, v19 :: v_dual_mul_f32 v21, v18, v2
	s_delay_alu instid0(VALU_DEP_1) | instskip(SKIP_1) | instid1(VALU_DEP_3)
	v_fma_f32 v13, v18, v2, -v21
	v_sub_f32_e32 v14, v14, v15
	v_fma_f32 v15, v16, v19, -v20
	s_delay_alu instid0(VALU_DEP_3) | instskip(NEXT) | instid1(VALU_DEP_2)
	v_fmac_f32_e32 v13, v4, v2
	v_dual_fmac_f32 v15, v14, v19 :: v_dual_mul_f32 v2, v11, v16
	s_delay_alu instid0(VALU_DEP_2) | instskip(NEXT) | instid1(VALU_DEP_2)
	v_dual_mul_f32 v19, v12, v18 :: v_dual_add_f32 v22, v21, v13
	v_add_f32_e32 v17, v20, v15
	s_delay_alu instid0(VALU_DEP_3) | instskip(NEXT) | instid1(VALU_DEP_3)
	v_fma_f32 v23, v16, v11, -v2
	v_fma_f32 v27, v18, v12, -v19
	s_delay_alu instid0(VALU_DEP_4) | instskip(NEXT) | instid1(VALU_DEP_4)
	v_dual_sub_f32 v21, v22, v21 :: v_dual_add_f32 v28, 0x3f2aaaaa, v22
	v_sub_f32_e32 v20, v17, v20
	v_add_f32_e32 v24, 0x3f2aaaaa, v17
	v_fmac_f32_e32 v23, v16, v9
	s_delay_alu instid0(VALU_DEP_4) | instskip(SKIP_3) | instid1(VALU_DEP_4)
	v_dual_sub_f32 v13, v13, v21 :: v_dual_add_f32 v16, 0xbf2aaaaa, v28
	v_fmac_f32_e32 v27, v18, v10
	v_sub_f32_e32 v15, v15, v20
	v_add_f32_e32 v20, 0xbf2aaaaa, v24
	v_add_f32_e32 v13, 0x31739010, v13
	v_fmac_f32_e32 v23, v14, v11
	s_delay_alu instid0(VALU_DEP_4) | instskip(NEXT) | instid1(VALU_DEP_4)
	v_dual_sub_f32 v14, v22, v16 :: v_dual_add_f32 v15, 0x31739010, v15
	v_sub_f32_e32 v17, v17, v20
	v_fmac_f32_e32 v27, v4, v12
	v_subrev_co_ci_u32_e64 v1, s5, 0, v1, s5
	s_delay_alu instid0(VALU_DEP_3) | instskip(SKIP_1) | instid1(VALU_DEP_3)
	v_dual_add_f32 v4, v13, v14 :: v_dual_add_f32 v15, v15, v17
	v_ldexp_f32 v12, v12, 1
	v_cvt_f32_i32_e32 v1, v1
	v_subrev_co_ci_u32_e64 v3, s5, 0, v3, s6
	s_delay_alu instid0(VALU_DEP_4) | instskip(SKIP_3) | instid1(VALU_DEP_4)
	v_add_f32_e32 v14, v24, v15
	v_dual_add_f32 v16, v28, v4 :: v_dual_add_f32 v13, v2, v23
	v_ldexp_f32 v10, v10, 1
	v_ldexp_f32 v9, v9, 1
	v_sub_f32_e32 v18, v24, v14
	v_cmp_gt_f32_e64 s6, 0, v6
	v_dual_mul_f32 v20, v13, v14 :: v_dual_add_f32 v17, v19, v27
	s_delay_alu instid0(VALU_DEP_1) | instskip(SKIP_1) | instid1(VALU_DEP_1)
	v_mul_f32_e32 v22, v17, v16
	v_dual_sub_f32 v2, v13, v2 :: v_dual_sub_f32 v21, v28, v16
	v_sub_f32_e32 v2, v23, v2
	s_delay_alu instid0(VALU_DEP_2) | instskip(SKIP_3) | instid1(VALU_DEP_3)
	v_dual_add_f32 v15, v15, v18 :: v_dual_add_f32 v4, v4, v21
	v_fma_f32 v18, v13, v14, -v20
	v_fma_f32 v21, v17, v16, -v22
	v_cndmask_b32_e64 v23, v26, 1.0, vcc_lo
	v_fmac_f32_e32 v18, v13, v15
	v_sub_f32_e32 v19, v17, v19
	s_delay_alu instid0(VALU_DEP_4) | instskip(SKIP_1) | instid1(VALU_DEP_3)
	v_fmac_f32_e32 v21, v17, v4
	v_ldexp_f32 v4, v11, 1
	v_dual_fmac_f32 v18, v2, v14 :: v_dual_sub_f32 v13, v27, v19
	v_cvt_f32_i32_e32 v2, v3
	v_mul_f32_e32 v3, 0x3f317218, v1
	s_delay_alu instid0(VALU_DEP_3) | instskip(NEXT) | instid1(VALU_DEP_2)
	v_fmac_f32_e32 v21, v13, v16
	v_fma_f32 v15, 0x3f317218, v1, -v3
	s_delay_alu instid0(VALU_DEP_2) | instskip(NEXT) | instid1(VALU_DEP_1)
	v_add_f32_e32 v14, v22, v21
	v_sub_f32_e32 v19, v14, v22
	v_add_f32_e32 v11, v20, v18
	s_delay_alu instid0(VALU_DEP_1) | instskip(NEXT) | instid1(VALU_DEP_1)
	v_dual_sub_f32 v17, v11, v20 :: v_dual_add_f32 v20, v12, v14
	v_dual_sub_f32 v17, v18, v17 :: v_dual_sub_f32 v12, v20, v12
	s_delay_alu instid0(VALU_DEP_4) | instskip(SKIP_1) | instid1(VALU_DEP_2)
	v_sub_f32_e32 v18, v21, v19
	v_dual_add_f32 v16, v4, v11 :: v_dual_mul_f32 v13, 0x3f317218, v2
	v_add_f32_e32 v10, v10, v18
	s_delay_alu instid0(VALU_DEP_2) | instskip(NEXT) | instid1(VALU_DEP_1)
	v_sub_f32_e32 v4, v16, v4
	v_sub_f32_e32 v4, v11, v4
	s_delay_alu instid0(VALU_DEP_4) | instskip(SKIP_2) | instid1(VALU_DEP_2)
	v_fma_f32 v11, 0x3f317218, v2, -v13
	v_fmac_f32_e32 v15, 0xb102e308, v1
	v_add_f32_e32 v9, v9, v17
	v_dual_fmac_f32 v11, 0xb102e308, v2 :: v_dual_add_f32 v2, v3, v15
	s_delay_alu instid0(VALU_DEP_2) | instskip(SKIP_1) | instid1(VALU_DEP_3)
	v_add_f32_e32 v4, v9, v4
	v_sub_f32_e32 v1, v14, v12
	v_sub_f32_e32 v3, v2, v3
	s_delay_alu instid0(VALU_DEP_3) | instskip(NEXT) | instid1(VALU_DEP_1)
	v_add_f32_e32 v9, v16, v4
	v_dual_sub_f32 v3, v15, v3 :: v_dual_add_f32 v14, v2, v9
	s_delay_alu instid0(VALU_DEP_1) | instskip(NEXT) | instid1(VALU_DEP_1)
	v_dual_sub_f32 v18, v14, v2 :: v_dual_sub_f32 v15, v9, v16
	v_sub_f32_e32 v16, v14, v18
	s_delay_alu instid0(VALU_DEP_2) | instskip(NEXT) | instid1(VALU_DEP_2)
	v_dual_add_f32 v1, v10, v1 :: v_dual_sub_f32 v4, v4, v15
	v_dual_sub_f32 v9, v9, v18 :: v_dual_sub_f32 v2, v2, v16
	s_delay_alu instid0(VALU_DEP_2) | instskip(SKIP_1) | instid1(VALU_DEP_4)
	v_add_f32_e32 v12, v20, v1
	v_add_f32_e32 v10, v13, v11
	;; [unrolled: 1-line block ×3, first 2 shown]
	s_delay_alu instid0(VALU_DEP_2) | instskip(NEXT) | instid1(VALU_DEP_1)
	v_dual_add_f32 v2, v9, v2 :: v_dual_sub_f32 v13, v10, v13
	v_dual_add_f32 v17, v10, v12 :: v_dual_add_f32 v2, v16, v2
	s_delay_alu instid0(VALU_DEP_2) | instskip(NEXT) | instid1(VALU_DEP_2)
	v_sub_f32_e32 v11, v11, v13
	v_sub_f32_e32 v13, v17, v10
	s_delay_alu instid0(VALU_DEP_1) | instskip(NEXT) | instid1(VALU_DEP_1)
	v_sub_f32_e32 v15, v17, v13
	v_dual_sub_f32 v10, v10, v15 :: v_dual_sub_f32 v19, v12, v20
	s_delay_alu instid0(VALU_DEP_1) | instskip(NEXT) | instid1(VALU_DEP_1)
	v_dual_sub_f32 v12, v12, v13 :: v_dual_sub_f32 v1, v1, v19
	v_dual_add_f32 v10, v12, v10 :: v_dual_add_f32 v9, v11, v1
	v_sub_f32_e32 v13, v16, v3
	s_delay_alu instid0(VALU_DEP_1) | instskip(NEXT) | instid1(VALU_DEP_3)
	v_dual_sub_f32 v15, v16, v13 :: v_dual_add_f32 v16, v14, v2
	v_sub_f32_e32 v12, v9, v11
	s_delay_alu instid0(VALU_DEP_4) | instskip(SKIP_1) | instid1(VALU_DEP_3)
	v_add_f32_e32 v10, v9, v10
	v_sub_f32_e32 v4, v4, v13
	v_dual_sub_f32 v14, v16, v14 :: v_dual_sub_f32 v1, v1, v12
	s_delay_alu instid0(VALU_DEP_3) | instskip(NEXT) | instid1(VALU_DEP_2)
	v_add_f32_e32 v13, v17, v10
	v_dual_sub_f32 v9, v9, v12 :: v_dual_sub_f32 v2, v2, v14
	v_sub_f32_e32 v3, v3, v15
	v_mul_f32_e32 v15, 0.5, v5
	s_delay_alu instid0(VALU_DEP_2) | instskip(NEXT) | instid1(VALU_DEP_1)
	v_add_f32_e32 v3, v4, v3
	v_add_f32_e32 v2, v3, v2
	s_delay_alu instid0(VALU_DEP_1) | instskip(SKIP_2) | instid1(VALU_DEP_3)
	v_add_f32_e32 v3, v16, v2
	v_sub_f32_e32 v9, v11, v9
	v_trunc_f32_e32 v11, v5
	v_mul_f32_e32 v14, v5, v3
	v_sub_f32_e32 v12, v3, v16
	v_sub_f32_e32 v4, v13, v17
	v_add_f32_e32 v1, v1, v9
	v_cndmask_b32_e64 v9, |s7|, 1.0, s4
	v_cmp_gt_f32_e64 s4, 0, v5
	s_delay_alu instid0(VALU_DEP_4) | instskip(NEXT) | instid1(VALU_DEP_3)
	v_sub_f32_e32 v4, v10, v4
	v_cmp_neq_f32_e64 s5, v6, v9
	s_delay_alu instid0(VALU_DEP_2)
	v_add_f32_e32 v1, v1, v4
	v_sub_f32_e32 v2, v2, v12
	v_fma_f32 v3, v5, v3, -v14
	v_cndmask_b32_e64 v4, |s7|, 1.0, s3
	v_mul_f32_e32 v12, 0.5, v6
	v_add_f32_e32 v10, v13, v1
	s_delay_alu instid0(VALU_DEP_3) | instskip(NEXT) | instid1(VALU_DEP_2)
	v_cmp_neq_f32_e64 s3, v5, v4
	v_mul_f32_e32 v16, v6, v10
	v_sub_f32_e32 v13, v10, v13
	s_delay_alu instid0(VALU_DEP_2) | instskip(NEXT) | instid1(VALU_DEP_2)
	v_fma_f32 v10, v6, v10, -v16
	v_sub_f32_e32 v1, v1, v13
	v_fmac_f32_e32 v3, v5, v2
	v_cmp_class_f32_e64 s7, v16, 0x204
	v_cndmask_b32_e64 v13, v25, 1.0, s2
	v_cmp_class_f32_e64 s2, v14, 0x204
	v_fmac_f32_e32 v10, v6, v1
	v_trunc_f32_e32 v2, v6
	s_delay_alu instid0(VALU_DEP_2) | instskip(NEXT) | instid1(VALU_DEP_2)
	v_add_f32_e32 v17, v16, v10
	v_cmp_eq_f32_e32 vcc_lo, v2, v6
	v_trunc_f32_e32 v2, v12
	s_delay_alu instid0(VALU_DEP_3) | instskip(NEXT) | instid1(VALU_DEP_1)
	v_cndmask_b32_e64 v19, v17, v16, s7
	v_cmp_eq_f32_e64 s9, 0x42b17218, v19
	s_delay_alu instid0(VALU_DEP_1) | instskip(SKIP_2) | instid1(VALU_DEP_3)
	v_cndmask_b32_e64 v21, 0, 0x37000000, s9
	v_add_f32_e32 v1, v14, v3
	v_cmp_gt_f32_e64 s9, 1.0, v8
	v_sub_f32_e32 v24, v19, v21
	s_delay_alu instid0(VALU_DEP_3)
	v_cndmask_b32_e64 v18, v1, v14, s2
	v_cmp_eq_f32_e64 s2, v11, v5
	v_trunc_f32_e32 v11, v15
	v_sub_f32_e32 v1, v1, v14
	v_sub_f32_e32 v14, v17, v16
	v_cmp_eq_f32_e64 s7, 0x42b17218, v18
	s_xor_b32 s5, s5, s9
	v_cmp_neq_f32_e64 s11, v11, v15
	s_delay_alu instid0(VALU_DEP_3) | instskip(NEXT) | instid1(VALU_DEP_3)
	v_dual_mul_f32 v11, 0x3fb8aa3b, v24 :: v_dual_sub_f32 v10, v10, v14
	v_cndmask_b32_e64 v20, 0, 0x37000000, s7
	v_cmp_gt_f32_e64 s7, 1.0, v7
	v_sub_f32_e32 v1, v3, v1
	s_delay_alu instid0(VALU_DEP_4)
	v_fma_f32 v31, 0x3fb8aa3b, v24, -v11
	v_rndne_f32_e32 v32, v11
	v_sub_f32_e32 v22, v18, v20
	s_xor_b32 s3, s3, s7
	v_cmp_neq_f32_e64 s7, v2, v12
	v_fmac_f32_e32 v31, 0x32a5705f, v24
	v_sub_f32_e32 v11, v11, v32
	v_mul_f32_e32 v27, 0x3fb8aa3b, v22
	v_cmp_neq_f32_e64 s9, 0x7f800000, |v18|
	v_cvt_i32_f32_e32 v14, v32
	v_cndmask_b32_e64 v30, v4, 0, s3
	v_add_f32_e32 v11, v11, v31
	v_fma_f32 v15, 0x3fb8aa3b, v22, -v27
	v_rndne_f32_e32 v28, v27
	v_cndmask_b32_e64 v1, 0, v1, s9
	v_cmp_neq_f32_e64 s9, 0x7f800000, |v19|
	v_exp_f32_e32 v11, v11
	v_fmac_f32_e32 v15, 0x32a5705f, v22
	v_sub_f32_e32 v27, v27, v28
	v_cvt_i32_f32_e32 v3, v28
	v_add_f32_e32 v1, v20, v1
	s_and_b32 s7, vcc_lo, s7
	v_cmp_eq_f32_e64 s3, 0, v13
	v_add_f32_e32 v2, v27, v15
	v_cndmask_b32_e64 v12, v9, 0, s5
	v_cmp_eq_f32_e64 s5, 0, v23
	v_cvt_f32_f64_e32 v31, s[16:17]
	s_xor_b32 s4, s4, s3
	v_exp_f32_e32 v2, v2
	v_cvt_f32_f64_e32 v27, s[18:19]
	s_waitcnt_depctr 0xfff
	v_ldexp_f32 v2, v2, v3
	v_cndmask_b32_e64 v3, 0, v10, s9
	v_cmp_ngt_f32_e64 s9, 0xc2ce8ed0, v22
	v_ldexp_f32 v10, v11, v14
	v_cndmask_b32_e64 v14, 1.0, v23, s7
	s_delay_alu instid0(VALU_DEP_4) | instskip(NEXT) | instid1(VALU_DEP_4)
	v_add_f32_e32 v3, v21, v3
	v_cndmask_b32_e64 v2, 0, v2, s9
	v_cmp_ngt_f32_e64 s9, 0xc2ce8ed0, v24
	s_delay_alu instid0(VALU_DEP_1) | instskip(SKIP_1) | instid1(VALU_DEP_1)
	v_cndmask_b32_e64 v10, 0, v10, s9
	v_cmp_nlt_f32_e64 s9, 0x42b17218, v22
	v_cndmask_b32_e64 v2, 0x7f800000, v2, s9
	v_cmp_nlt_f32_e64 s9, 0x42b17218, v24
	s_delay_alu instid0(VALU_DEP_2) | instskip(NEXT) | instid1(VALU_DEP_2)
	v_fma_f32 v1, v2, v1, v2
	v_cndmask_b32_e64 v10, 0x7f800000, v10, s9
	s_and_b32 s9, s2, s11
	v_cmp_eq_f32_e64 s11, 1.0, v7
	v_cndmask_b32_e64 v11, 1.0, v13, s9
	s_delay_alu instid0(VALU_DEP_3) | instskip(NEXT) | instid1(VALU_DEP_3)
	v_fma_f32 v3, v10, v3, v10
	v_cndmask_b32_e64 v7, v30, v7, s11
	v_cmp_class_f32_e64 s11, v10, 0x204
	s_delay_alu instid0(VALU_DEP_1) | instskip(SKIP_1) | instid1(VALU_DEP_2)
	v_cndmask_b32_e64 v3, v3, v10, s11
	v_cmp_class_f32_e64 s11, v2, 0x204
	v_bfi_b32 v3, 0x7fffffff, v3, v14
	s_delay_alu instid0(VALU_DEP_2) | instskip(SKIP_3) | instid1(VALU_DEP_4)
	v_cndmask_b32_e64 v1, v1, v2, s11
	v_cndmask_b32_e64 v2, 0x7f800000, 0, s4
	v_cmp_eq_f32_e64 s4, 1.0, v8
	v_cndmask_b32_e64 v14, 0, v13, s9
	v_bfi_b32 v1, 0x7fffffff, v1, v11
	v_cndmask_b32_e32 v11, 0x7fc00000, v3, vcc_lo
	v_cmp_gt_f32_e32 vcc_lo, 0, v23
	v_cndmask_b32_e64 v8, v12, v8, s4
	s_xor_b32 s4, s6, s5
	v_cndmask_b32_e64 v15, 0x7fc00000, v1, s2
	v_cndmask_b32_e64 v10, 0x7f800000, 0, s4
	v_cndmask_b32_e32 v3, v3, v11, vcc_lo
	v_cmp_gt_f32_e32 vcc_lo, 0, v13
	v_cndmask_b32_e64 v12, 0, v23, s7
	v_cmp_o_f32_e64 s2, v23, v6
	v_bfi_b32 v2, 0x7fffffff, v2, v14
	v_cndmask_b32_e32 v1, v1, v15, vcc_lo
	v_cmp_eq_f32_e32 vcc_lo, 0x7f800000, v9
	v_bfi_b32 v10, 0x7fffffff, v10, v12
	v_cndmask_b32_e32 v3, v3, v8, vcc_lo
	v_cmp_eq_f32_e32 vcc_lo, 0x7f800000, v4
	v_cndmask_b32_e32 v1, v1, v7, vcc_lo
	s_or_b32 vcc_lo, s10, s5
	s_delay_alu instid0(VALU_DEP_3)
	v_cndmask_b32_e32 v3, v3, v10, vcc_lo
	s_or_b32 vcc_lo, s8, s3
	s_sub_u32 s6, s28, s34
	s_subb_u32 s7, s29, s35
	s_lshl_b64 s[8:9], s[26:27], 17
	v_sub_f32_e32 v3, 1.0, v3
	s_load_b64 s[26:27], s[0:1], s30 offset:0x2d0
	s_add_u32 s10, s14, s8
	s_addc_u32 s11, s15, s9
	s_and_b32 s4, s10, 7
	v_cndmask_b32_e64 v3, 0x7fc00000, v3, s2
	s_add_u32 s29, s20, s8
	s_addc_u32 s34, s21, s9
	s_and_b32 s30, s29, 7
	s_delay_alu instid0(VALU_DEP_1)
	v_dual_cndmask_b32 v1, v1, v2 :: v_dual_mul_f32 v4, 0x4f800000, v3
	v_cmp_gt_f32_e64 s2, 0xf800000, v3
	s_cmp_lg_u64 s[30:31], 0
	v_cmp_o_f32_e32 vcc_lo, v13, v5
	s_cselect_b32 s5, -1, 0
	s_add_u32 s35, s24, s8
	v_cndmask_b32_e64 v3, v3, v4, s2
	s_addc_u32 s36, s25, s9
	s_and_b32 s30, s35, 7
	v_sub_f32_e32 v1, 1.0, v1
	s_cmp_lg_u64 s[30:31], 0
	v_sqrt_f32_e32 v4, v3
	s_cselect_b32 s30, -1, 0
	s_waitcnt lgkmcnt(0)
	s_add_u32 s16, s26, s8
	v_cndmask_b32_e32 v30, 0x7fc00000, v1, vcc_lo
	s_addc_u32 s17, s27, s9
	s_add_u32 s18, s22, s8
	s_addc_u32 s19, s23, s9
	s_or_b32 s3, s18, s16
	v_cmp_class_f32_e64 vcc_lo, v3, 0x260
	s_and_b32 s3, s3, 7
	s_waitcnt_depctr 0xfff
	v_add_nc_u32_e32 v6, -1, v4
	v_add_nc_u32_e32 v7, 1, v4
	s_cmp_lg_u32 s3, 0
	s_cselect_b32 s37, -1, 0
	s_delay_alu instid0(VALU_DEP_2) | instskip(NEXT) | instid1(VALU_DEP_2)
	v_fma_f32 v8, -v6, v4, v3
	v_fma_f32 v9, -v7, v4, v3
	s_delay_alu instid0(VALU_DEP_2) | instskip(NEXT) | instid1(VALU_DEP_1)
	v_cmp_ge_f32_e64 s3, 0, v8
	v_cndmask_b32_e64 v4, v4, v6, s3
	s_and_b32 s3, s28, 3
	s_or_b32 s28, s37, s30
	s_or_b32 s30, s4, s3
	v_cmp_lt_f32_e64 s3, 0, v9
	s_delay_alu instid0(VALU_DEP_1) | instskip(SKIP_3) | instid1(VALU_DEP_1)
	v_cndmask_b32_e64 v4, v4, v7, s3
	s_or_b32 s3, s28, s5
	s_cmp_lg_u64 s[30:31], 0
	s_cselect_b32 s4, -1, 0
	v_mul_f32_e32 v2, 0x37800000, v4
	s_or_b32 s3, s3, s4
	s_delay_alu instid0(VALU_DEP_1) | instskip(SKIP_1) | instid1(VALU_DEP_1)
	v_cndmask_b32_e64 v2, v4, v2, s2
	s_mov_b32 s2, -1
	v_cndmask_b32_e32 v28, v2, v3, vcc_lo
	s_and_not1_b32 vcc_lo, exec_lo, s3
	s_cbranch_vccz .LBB3_22
; %bb.7:
	v_dual_mov_b32 v2, 0 :: v_dual_lshlrev_b32 v1, 2, v0
	s_mov_b32 s28, exec_lo
	s_delay_alu instid0(VALU_DEP_1)
	v_cmpx_gt_i64_e64 s[6:7], v[1:2]
	s_cbranch_execz .LBB3_21
; %bb.8:
	v_div_scale_f32 v1, null, v30, v30, v29
	v_div_scale_f32 v5, vcc_lo, v29, v30, v29
	s_load_b32 s3, s[0:1], 0xd34
	s_delay_alu instid0(VALU_DEP_2)
	v_rcp_f32_e32 v3, v1
	s_cmp_lg_u64 s[12:13], 0
	v_cmp_neq_f32_e64 s2, 0, v31
	s_cselect_b32 s30, -1, 0
	v_dual_mul_f32 v32, v29, v31 :: v_dual_lshlrev_b32 v33, 3, v0
	s_waitcnt_depctr 0xfff
	v_fma_f32 v4, -v1, v3, 1.0
	s_delay_alu instid0(VALU_DEP_1) | instskip(SKIP_2) | instid1(VALU_DEP_1)
	v_fmac_f32_e32 v3, v4, v3
	s_waitcnt lgkmcnt(0)
	s_and_b32 s3, s3, 0xffff
	v_mul_f32_e32 v4, v5, v3
	s_lshl_b32 s37, s3, 2
	s_lshl_b32 s38, s3, 3
	s_delay_alu instid0(VALU_DEP_1) | instskip(NEXT) | instid1(VALU_DEP_1)
	v_fma_f32 v6, -v1, v4, v5
	v_fmac_f32_e32 v4, v6, v3
	s_delay_alu instid0(VALU_DEP_1) | instskip(NEXT) | instid1(VALU_DEP_1)
	v_fma_f32 v1, -v1, v4, v5
	v_div_fmas_f32 v3, v1, v3, v4
	v_add_lshl_u32 v1, v0, s3, 2
	s_delay_alu instid0(VALU_DEP_2) | instskip(NEXT) | instid1(VALU_DEP_2)
	v_div_fixup_f32 v34, v3, v30, v29
	v_dual_mov_b32 v4, v2 :: v_dual_mov_b32 v3, v1
	s_branch .LBB3_10
.LBB3_9:                                ;   in Loop: Header=BB3_10 Depth=1
	v_cmp_le_i64_e32 vcc_lo, s[6:7], v[3:4]
	v_cmp_lt_u64_e64 s3, 0xffff, v[3:4]
	v_cvt_f16_f32_e32 v1, v18
	v_cvt_f16_f32_e32 v13, v20
	;; [unrolled: 1-line block ×5, first 2 shown]
	s_or_b32 s3, vcc_lo, s3
	s_add_u32 s10, s10, s38
	s_addc_u32 s11, s11, 0
	s_add_u32 s18, s18, s38
	s_addc_u32 s19, s19, 0
	v_cvt_f16_f32_e32 v20, v38
	v_cvt_f16_f32_e32 v17, v17
	;; [unrolled: 1-line block ×3, first 2 shown]
	s_add_u32 s29, s29, s38
	v_cvt_f16_f32_e32 v15, v41
	v_cvt_f16_f32_e32 v16, v37
	v_cvt_f16_f32_e32 v22, v39
	v_cvt_f16_f32_e32 v21, v21
	s_addc_u32 s34, s34, 0
	s_add_u32 s16, s16, s38
	v_add_co_u32 v3, vcc_lo, v3, s37
	s_addc_u32 s17, s17, 0
	s_add_u32 s35, s35, s38
	v_pack_b32_f16 v12, v11, v1
	v_pack_b32_f16 v11, v17, v18
	;; [unrolled: 1-line block ×4, first 2 shown]
	v_add_co_ci_u32_e32 v4, vcc_lo, 0, v4, vcc_lo
	s_addc_u32 s36, s36, 0
	v_pack_b32_f16 v16, v16, v15
	v_pack_b32_f16 v15, v21, v22
	s_and_b32 s3, exec_lo, s3
	global_store_b64 v[5:6], v[11:12], off
	s_or_b32 s31, s3, s31
	global_store_b64 v[7:8], v[13:14], off
	global_store_b64 v[9:10], v[15:16], off
	s_and_not1_b32 exec_lo, exec_lo, s31
	s_cbranch_execz .LBB3_21
.LBB3_10:                               ; =>This Inner Loop Header: Depth=1
	v_add_co_u32 v11, s3, s29, v33
	s_delay_alu instid0(VALU_DEP_1) | instskip(SKIP_1) | instid1(VALU_DEP_1)
	v_add_co_ci_u32_e64 v12, null, s34, 0, s3
	v_add_co_u32 v13, s3, s10, v33
	v_add_co_ci_u32_e64 v14, null, s11, 0, s3
	v_add_co_u32 v5, s3, s35, v33
	s_delay_alu instid0(VALU_DEP_1) | instskip(SKIP_1) | instid1(VALU_DEP_1)
	v_add_co_ci_u32_e64 v6, null, s36, 0, s3
	v_add_co_u32 v7, s3, s16, v33
	v_add_co_ci_u32_e64 v8, null, s17, 0, s3
	v_add_co_u32 v9, s3, s18, v33
	global_load_b64 v[23:24], v[11:12], off
	v_add_co_ci_u32_e64 v10, null, s19, 0, s3
	global_load_b64 v[15:16], v[13:14], off
	global_load_b64 v[17:18], v[5:6], off
	;; [unrolled: 1-line block ×4, first 2 shown]
	s_and_not1_b32 vcc_lo, exec_lo, s30
	s_waitcnt vmcnt(4)
	v_cvt_f32_f16_e32 v1, v23
	s_cbranch_vccnz .LBB3_12
; %bb.11:                               ;   in Loop: Header=BB3_10 Depth=1
	global_load_b32 v35, v2, s[12:13]
	s_waitcnt vmcnt(0)
	v_div_scale_f32 v36, null, v35, v35, v1
	s_delay_alu instid0(VALU_DEP_1) | instskip(SKIP_2) | instid1(VALU_DEP_1)
	v_rcp_f32_e32 v37, v36
	s_waitcnt_depctr 0xfff
	v_fma_f32 v38, -v36, v37, 1.0
	v_fmac_f32_e32 v37, v38, v37
	v_div_scale_f32 v38, vcc_lo, v1, v35, v1
	s_delay_alu instid0(VALU_DEP_1) | instskip(NEXT) | instid1(VALU_DEP_1)
	v_mul_f32_e32 v39, v38, v37
	v_fma_f32 v40, -v36, v39, v38
	s_delay_alu instid0(VALU_DEP_1) | instskip(NEXT) | instid1(VALU_DEP_1)
	v_fmac_f32_e32 v39, v40, v37
	v_fma_f32 v36, -v36, v39, v38
	s_delay_alu instid0(VALU_DEP_1) | instskip(NEXT) | instid1(VALU_DEP_1)
	v_div_fmas_f32 v36, v36, v37, v39
	v_div_fixup_f32 v1, v36, v35, v1
.LBB3_12:                               ;   in Loop: Header=BB3_10 Depth=1
	v_lshrrev_b32_e32 v23, 16, v23
	s_and_not1_b32 vcc_lo, exec_lo, s30
	s_delay_alu instid0(VALU_DEP_1)
	v_cvt_f32_f16_e32 v23, v23
	s_cbranch_vccnz .LBB3_14
; %bb.13:                               ;   in Loop: Header=BB3_10 Depth=1
	global_load_b32 v35, v2, s[12:13]
	s_waitcnt vmcnt(0)
	v_div_scale_f32 v36, null, v35, v35, v23
	s_delay_alu instid0(VALU_DEP_1) | instskip(SKIP_2) | instid1(VALU_DEP_1)
	v_rcp_f32_e32 v37, v36
	s_waitcnt_depctr 0xfff
	v_fma_f32 v38, -v36, v37, 1.0
	v_fmac_f32_e32 v37, v38, v37
	v_div_scale_f32 v38, vcc_lo, v23, v35, v23
	s_delay_alu instid0(VALU_DEP_1) | instskip(NEXT) | instid1(VALU_DEP_1)
	v_mul_f32_e32 v39, v38, v37
	v_fma_f32 v40, -v36, v39, v38
	s_delay_alu instid0(VALU_DEP_1) | instskip(NEXT) | instid1(VALU_DEP_1)
	v_fmac_f32_e32 v39, v40, v37
	v_fma_f32 v36, -v36, v39, v38
	s_delay_alu instid0(VALU_DEP_1) | instskip(NEXT) | instid1(VALU_DEP_1)
	v_div_fmas_f32 v36, v36, v37, v39
	v_div_fixup_f32 v23, v36, v35, v23
.LBB3_14:                               ;   in Loop: Header=BB3_10 Depth=1
	v_cvt_f32_f16_e32 v35, v24
	s_and_not1_b32 vcc_lo, exec_lo, s30
	s_cbranch_vccnz .LBB3_16
; %bb.15:                               ;   in Loop: Header=BB3_10 Depth=1
	global_load_b32 v36, v2, s[12:13]
	s_waitcnt vmcnt(0)
	v_div_scale_f32 v37, null, v36, v36, v35
	s_delay_alu instid0(VALU_DEP_1) | instskip(SKIP_2) | instid1(VALU_DEP_1)
	v_rcp_f32_e32 v38, v37
	s_waitcnt_depctr 0xfff
	v_fma_f32 v39, -v37, v38, 1.0
	v_fmac_f32_e32 v38, v39, v38
	v_div_scale_f32 v39, vcc_lo, v35, v36, v35
	s_delay_alu instid0(VALU_DEP_1) | instskip(NEXT) | instid1(VALU_DEP_1)
	v_mul_f32_e32 v40, v39, v38
	v_fma_f32 v41, -v37, v40, v39
	s_delay_alu instid0(VALU_DEP_1) | instskip(NEXT) | instid1(VALU_DEP_1)
	v_fmac_f32_e32 v40, v41, v38
	v_fma_f32 v37, -v37, v40, v39
	s_delay_alu instid0(VALU_DEP_1) | instskip(NEXT) | instid1(VALU_DEP_1)
	v_div_fmas_f32 v37, v37, v38, v40
	v_div_fixup_f32 v35, v37, v36, v35
.LBB3_16:                               ;   in Loop: Header=BB3_10 Depth=1
	v_lshrrev_b32_e32 v24, 16, v24
	s_and_not1_b32 vcc_lo, exec_lo, s30
	s_delay_alu instid0(VALU_DEP_1)
	v_cvt_f32_f16_e32 v24, v24
	s_cbranch_vccnz .LBB3_18
; %bb.17:                               ;   in Loop: Header=BB3_10 Depth=1
	global_load_b32 v36, v2, s[12:13]
	s_waitcnt vmcnt(0)
	v_div_scale_f32 v37, null, v36, v36, v24
	s_delay_alu instid0(VALU_DEP_1) | instskip(SKIP_2) | instid1(VALU_DEP_1)
	v_rcp_f32_e32 v38, v37
	s_waitcnt_depctr 0xfff
	v_fma_f32 v39, -v37, v38, 1.0
	v_fmac_f32_e32 v38, v39, v38
	v_div_scale_f32 v39, vcc_lo, v24, v36, v24
	s_delay_alu instid0(VALU_DEP_1) | instskip(NEXT) | instid1(VALU_DEP_1)
	v_mul_f32_e32 v40, v39, v38
	v_fma_f32 v41, -v37, v40, v39
	s_delay_alu instid0(VALU_DEP_1) | instskip(NEXT) | instid1(VALU_DEP_1)
	v_fmac_f32_e32 v40, v41, v38
	v_fma_f32 v37, -v37, v40, v39
	s_delay_alu instid0(VALU_DEP_1) | instskip(NEXT) | instid1(VALU_DEP_1)
	v_div_fmas_f32 v37, v37, v38, v40
	v_div_fixup_f32 v24, v37, v36, v24
.LBB3_18:                               ;   in Loop: Header=BB3_10 Depth=1
	v_cndmask_b32_e64 v40, v35, -v35, s33
	s_waitcnt vmcnt(0)
	v_cvt_f32_f16_e32 v37, v22
	v_cndmask_b32_e64 v53, v1, -v1, s33
	v_cndmask_b32_e64 v56, v24, -v24, s33
	v_mul_f32_e32 v36, v40, v40
	v_fma_f32 v40, -v25, v40, v40
	s_delay_alu instid0(VALU_DEP_2) | instskip(NEXT) | instid1(VALU_DEP_2)
	v_fma_f32 v36, -v26, v36, v36
	v_fma_mix_f32 v40, v25, v18, v40 op_sel_hi:[0,1,0]
	s_delay_alu instid0(VALU_DEP_2) | instskip(NEXT) | instid1(VALU_DEP_1)
	v_fma_mix_f32 v36, v26, v20, v36 op_sel_hi:[0,1,0]
	v_max_f32_e32 v37, v37, v36
	s_delay_alu instid0(VALU_DEP_1) | instskip(SKIP_1) | instid1(VALU_DEP_1)
	v_cmp_gt_f32_e32 vcc_lo, 0xf800000, v37
	v_mul_f32_e32 v38, 0x4f800000, v37
	v_cndmask_b32_e32 v38, v37, v38, vcc_lo
	s_delay_alu instid0(VALU_DEP_1) | instskip(SKIP_3) | instid1(VALU_DEP_2)
	v_sqrt_f32_e32 v39, v38
	s_waitcnt_depctr 0xfff
	v_add_nc_u32_e32 v41, -1, v39
	v_add_nc_u32_e32 v42, 1, v39
	v_fma_f32 v43, -v41, v39, v38
	s_delay_alu instid0(VALU_DEP_2) | instskip(NEXT) | instid1(VALU_DEP_2)
	v_fma_f32 v44, -v42, v39, v38
	v_cmp_ge_f32_e64 s3, 0, v43
	s_delay_alu instid0(VALU_DEP_1) | instskip(NEXT) | instid1(VALU_DEP_3)
	v_cndmask_b32_e64 v39, v39, v41, s3
	v_cmp_lt_f32_e64 s3, 0, v44
	v_cndmask_b32_e64 v41, v23, -v23, s33
	v_lshrrev_b32_e32 v44, 16, v21
	v_cvt_f32_f16_e32 v21, v21
	s_delay_alu instid0(VALU_DEP_4) | instskip(NEXT) | instid1(VALU_DEP_4)
	v_cndmask_b32_e64 v39, v39, v42, s3
	v_mul_f32_e32 v43, v41, v41
	v_fma_f32 v41, -v25, v41, v41
	s_delay_alu instid0(VALU_DEP_3) | instskip(NEXT) | instid1(VALU_DEP_1)
	v_mul_f32_e32 v42, 0x37800000, v39
	v_cndmask_b32_e32 v39, v39, v42, vcc_lo
	v_cmp_class_f32_e64 vcc_lo, v38, 0x260
	v_fma_f32 v42, -v26, v43, v43
	v_cvt_f32_f16_e32 v43, v44
	s_delay_alu instid0(VALU_DEP_4) | instskip(NEXT) | instid1(VALU_DEP_3)
	v_cndmask_b32_e32 v44, v39, v38, vcc_lo
	v_fma_mix_f32 v38, v26, v19, v42 op_sel:[0,1,0] op_sel_hi:[0,1,0]
	s_delay_alu instid0(VALU_DEP_2) | instskip(NEXT) | instid1(VALU_DEP_2)
	v_div_scale_f32 v42, null, v28, v28, v44
	v_max_f32_e32 v39, v43, v38
	s_delay_alu instid0(VALU_DEP_2) | instskip(SKIP_2) | instid1(VALU_DEP_1)
	v_rcp_f32_e32 v43, v42
	s_waitcnt_depctr 0xfff
	v_fma_f32 v46, -v42, v43, 1.0
	v_fmac_f32_e32 v43, v46, v43
	v_div_scale_f32 v48, vcc_lo, v44, v28, v44
	s_delay_alu instid0(VALU_DEP_1) | instskip(SKIP_2) | instid1(VALU_DEP_3)
	v_mul_f32_e32 v46, v48, v43
	v_mul_f32_e32 v45, 0x4f800000, v39
	v_cmp_gt_f32_e64 s3, 0xf800000, v39
	v_fma_f32 v51, -v42, v46, v48
	s_delay_alu instid0(VALU_DEP_2) | instskip(NEXT) | instid1(VALU_DEP_2)
	v_cndmask_b32_e64 v45, v39, v45, s3
	v_fmac_f32_e32 v46, v51, v43
	s_delay_alu instid0(VALU_DEP_2) | instskip(NEXT) | instid1(VALU_DEP_1)
	v_sqrt_f32_e32 v47, v45
	v_fma_f32 v42, -v42, v46, v48
	s_delay_alu instid0(VALU_DEP_1)
	v_div_fmas_f32 v42, v42, v43, v46
	v_cmp_class_f32_e64 vcc_lo, v45, 0x260
	s_waitcnt_depctr 0xfff
	v_add_nc_u32_e32 v49, -1, v47
	v_add_nc_u32_e32 v50, 1, v47
	v_div_fixup_f32 v42, v42, v28, v44
	v_mul_f32_e32 v44, v34, v40
	s_delay_alu instid0(VALU_DEP_4) | instskip(NEXT) | instid1(VALU_DEP_4)
	v_fma_f32 v52, -v49, v47, v45
	v_fma_f32 v54, -v50, v47, v45
	s_delay_alu instid0(VALU_DEP_2) | instskip(NEXT) | instid1(VALU_DEP_1)
	v_cmp_ge_f32_e64 s4, 0, v52
	v_cndmask_b32_e64 v47, v47, v49, s4
	v_mul_f32_e32 v49, v53, v53
	s_delay_alu instid0(VALU_DEP_4) | instskip(SKIP_1) | instid1(VALU_DEP_3)
	v_cmp_lt_f32_e64 s4, 0, v54
	v_fma_f32 v53, -v25, v53, v53
	v_fma_f32 v46, -v26, v49, v49
	s_delay_alu instid0(VALU_DEP_3) | instskip(NEXT) | instid1(VALU_DEP_2)
	v_cndmask_b32_e64 v47, v47, v50, s4
	v_fma_mix_f32 v19, v26, v19, v46 op_sel_hi:[0,1,0]
	s_delay_alu instid0(VALU_DEP_2) | instskip(NEXT) | instid1(VALU_DEP_2)
	v_mul_f32_e32 v43, 0x37800000, v47
	v_max_f32_e32 v21, v21, v19
	s_delay_alu instid0(VALU_DEP_2) | instskip(SKIP_1) | instid1(VALU_DEP_3)
	v_cndmask_b32_e64 v43, v47, v43, s3
	v_add_f32_e32 v42, v42, v27
	v_cmp_gt_f32_e64 s3, 0xf800000, v21
	s_delay_alu instid0(VALU_DEP_3) | instskip(NEXT) | instid1(VALU_DEP_3)
	v_cndmask_b32_e32 v43, v43, v45, vcc_lo
	v_div_scale_f32 v45, null, v42, v42, v44
	v_div_scale_f32 v54, vcc_lo, v44, v42, v44
	s_delay_alu instid0(VALU_DEP_3) | instskip(NEXT) | instid1(VALU_DEP_3)
	v_div_scale_f32 v46, null, v28, v28, v43
	v_rcp_f32_e32 v47, v45
	s_delay_alu instid0(VALU_DEP_1) | instskip(SKIP_4) | instid1(VALU_DEP_3)
	v_rcp_f32_e32 v49, v46
	s_waitcnt_depctr 0xfff
	v_fma_f32 v50, -v45, v47, 1.0
	v_mul_f32_e32 v48, 0x4f800000, v21
	v_fma_f32 v52, -v46, v49, 1.0
	v_fmac_f32_e32 v47, v50, v47
	s_delay_alu instid0(VALU_DEP_3) | instskip(SKIP_1) | instid1(VALU_DEP_4)
	v_cndmask_b32_e64 v48, v21, v48, s3
	v_div_scale_f32 v50, s4, v43, v28, v43
	v_fmac_f32_e32 v49, v52, v49
	s_delay_alu instid0(VALU_DEP_3) | instskip(SKIP_3) | instid1(VALU_DEP_2)
	v_sqrt_f32_e32 v51, v48
	s_waitcnt_depctr 0xfff
	v_dual_mul_f32 v57, v50, v49 :: v_dual_add_nc_u32 v58, 1, v51
	v_add_nc_u32_e32 v55, -1, v51
	v_fma_f32 v61, -v46, v57, v50
	v_mul_f32_e32 v52, v54, v47
	s_delay_alu instid0(VALU_DEP_4) | instskip(NEXT) | instid1(VALU_DEP_4)
	v_fma_f32 v62, -v58, v51, v48
	v_fma_f32 v60, -v55, v51, v48
	s_delay_alu instid0(VALU_DEP_4) | instskip(NEXT) | instid1(VALU_DEP_4)
	v_fmac_f32_e32 v57, v61, v49
	v_fma_f32 v59, -v45, v52, v54
	s_delay_alu instid0(VALU_DEP_3) | instskip(NEXT) | instid1(VALU_DEP_3)
	v_cmp_ge_f32_e64 s5, 0, v60
	v_fma_f32 v46, -v46, v57, v50
	s_delay_alu instid0(VALU_DEP_3) | instskip(NEXT) | instid1(VALU_DEP_3)
	v_fmac_f32_e32 v52, v59, v47
	v_cndmask_b32_e64 v51, v51, v55, s5
	v_mul_f32_e32 v55, v56, v56
	v_cmp_lt_f32_e64 s5, 0, v62
	s_delay_alu instid0(VALU_DEP_4) | instskip(SKIP_1) | instid1(VALU_DEP_4)
	v_fma_f32 v45, -v45, v52, v54
	v_fma_f32 v56, -v25, v56, v56
	;; [unrolled: 1-line block ×3, first 2 shown]
	s_delay_alu instid0(VALU_DEP_4) | instskip(NEXT) | instid1(VALU_DEP_4)
	v_cndmask_b32_e64 v51, v51, v58, s5
	v_div_fmas_f32 v45, v45, v47, v52
	s_mov_b32 vcc_lo, s4
	v_lshrrev_b32_e32 v47, 16, v22
	v_div_fmas_f32 v46, v46, v49, v57
	v_mul_f32_e32 v49, 0x37800000, v51
	v_fma_mix_f32 v22, v25, v17, v41 op_sel:[0,1,0] op_sel_hi:[0,1,0]
	v_cmp_class_f32_e64 vcc_lo, v48, 0x260
	v_fma_mix_f32 v20, v26, v20, v50 op_sel:[0,1,0] op_sel_hi:[0,1,0]
	v_div_fixup_f32 v41, v46, v28, v43
	v_cndmask_b32_e64 v46, v51, v49, s3
	v_cvt_f32_f16_e32 v43, v47
	v_fma_mix_f32 v17, v25, v17, v53 op_sel_hi:[0,1,0]
	v_fma_mix_f32 v18, v25, v18, v56 op_sel:[0,1,0] op_sel_hi:[0,1,0]
	s_delay_alu instid0(VALU_DEP_4) | instskip(NEXT) | instid1(VALU_DEP_4)
	v_dual_add_f32 v49, v41, v27 :: v_dual_cndmask_b32 v46, v46, v48
	v_max_f32_e32 v41, v43, v20
	v_div_fixup_f32 v42, v45, v42, v44
	s_delay_alu instid0(VALU_DEP_3) | instskip(NEXT) | instid1(VALU_DEP_3)
	v_div_scale_f32 v48, null, v28, v28, v46
	v_cmp_gt_f32_e64 s3, 0xf800000, v41
	s_delay_alu instid0(VALU_DEP_2) | instskip(SKIP_2) | instid1(VALU_DEP_1)
	v_rcp_f32_e32 v52, v48
	s_waitcnt_depctr 0xfff
	v_fma_f32 v57, -v48, v52, 1.0
	v_dual_fmac_f32 v52, v57, v52 :: v_dual_mul_f32 v47, v34, v22
	s_delay_alu instid0(VALU_DEP_1) | instskip(NEXT) | instid1(VALU_DEP_1)
	v_div_scale_f32 v43, null, v49, v49, v47
	v_rcp_f32_e32 v50, v43
	s_waitcnt_depctr 0xfff
	v_fma_f32 v54, -v43, v50, 1.0
	s_delay_alu instid0(VALU_DEP_1) | instskip(SKIP_1) | instid1(VALU_DEP_1)
	v_fmac_f32_e32 v50, v54, v50
	v_div_scale_f32 v54, s4, v46, v28, v46
	v_mul_f32_e32 v60, v54, v52
	s_delay_alu instid0(VALU_DEP_1) | instskip(NEXT) | instid1(VALU_DEP_1)
	v_fma_f32 v64, -v48, v60, v54
	v_fmac_f32_e32 v60, v64, v52
	v_div_scale_f32 v58, vcc_lo, v47, v49, v47
	s_delay_alu instid0(VALU_DEP_2) | instskip(NEXT) | instid1(VALU_DEP_2)
	v_fma_f32 v48, -v48, v60, v54
	v_mul_f32_e32 v57, v58, v50
	s_delay_alu instid0(VALU_DEP_1) | instskip(NEXT) | instid1(VALU_DEP_1)
	v_fma_f32 v62, -v43, v57, v58
	v_fmac_f32_e32 v57, v62, v50
	v_fma_mix_f32 v62, -v32, v15, v15 op_sel:[0,1,1] op_sel_hi:[0,1,1]
	s_delay_alu instid0(VALU_DEP_2) | instskip(NEXT) | instid1(VALU_DEP_1)
	v_fma_f32 v43, -v43, v57, v58
	v_div_fmas_f32 v43, v43, v50, v57
	s_mov_b32 vcc_lo, s4
	v_div_fmas_f32 v48, v48, v52, v60
	s_delay_alu instid0(VALU_DEP_1) | instskip(NEXT) | instid1(VALU_DEP_1)
	v_div_fixup_f32 v46, v48, v28, v46
	v_dual_mul_f32 v51, 0x4f800000, v41 :: v_dual_add_f32 v46, v46, v27
	s_delay_alu instid0(VALU_DEP_1) | instskip(NEXT) | instid1(VALU_DEP_1)
	v_cndmask_b32_e64 v51, v41, v51, s3
	v_sqrt_f32_e32 v55, v51
	v_cmp_class_f32_e64 vcc_lo, v51, 0x260
	s_waitcnt_depctr 0xfff
	v_add_nc_u32_e32 v59, -1, v55
	v_add_nc_u32_e32 v61, 1, v55
	s_delay_alu instid0(VALU_DEP_2) | instskip(NEXT) | instid1(VALU_DEP_2)
	v_fma_f32 v63, -v59, v55, v51
	v_fma_f32 v65, -v61, v55, v51
	s_delay_alu instid0(VALU_DEP_2) | instskip(SKIP_1) | instid1(VALU_DEP_2)
	v_cmp_ge_f32_e64 s5, 0, v63
	v_cvt_f32_f16_e32 v63, v15
	v_cndmask_b32_e64 v55, v55, v59, s5
	s_delay_alu instid0(VALU_DEP_4) | instskip(NEXT) | instid1(VALU_DEP_1)
	v_cmp_lt_f32_e64 s5, 0, v65
	v_cndmask_b32_e64 v55, v55, v61, s5
	s_delay_alu instid0(VALU_DEP_1) | instskip(NEXT) | instid1(VALU_DEP_1)
	v_mul_f32_e32 v50, 0x37800000, v55
	v_cndmask_b32_e64 v48, v55, v50, s3
	v_mul_f32_e32 v50, v34, v17
	v_div_fixup_f32 v43, v43, v49, v47
	s_delay_alu instid0(VALU_DEP_3) | instskip(NEXT) | instid1(VALU_DEP_3)
	v_cndmask_b32_e32 v48, v48, v51, vcc_lo
	v_div_scale_f32 v51, null, v46, v46, v50
	v_div_scale_f32 v58, vcc_lo, v50, v46, v50
	s_delay_alu instid0(VALU_DEP_3) | instskip(NEXT) | instid1(VALU_DEP_3)
	v_div_scale_f32 v52, null, v28, v28, v48
	v_rcp_f32_e32 v53, v51
	s_delay_alu instid0(VALU_DEP_1) | instskip(SKIP_3) | instid1(VALU_DEP_2)
	v_rcp_f32_e32 v54, v52
	s_waitcnt_depctr 0xfff
	v_fma_f32 v55, -v51, v53, 1.0
	v_fma_f32 v57, -v52, v54, 1.0
	v_fmac_f32_e32 v53, v55, v53
	v_div_scale_f32 v55, s3, v48, v28, v48
	s_delay_alu instid0(VALU_DEP_2) | instskip(NEXT) | instid1(VALU_DEP_1)
	v_dual_fmac_f32 v54, v57, v54 :: v_dual_mul_f32 v57, v58, v53
	v_fma_f32 v60, -v51, v57, v58
	s_delay_alu instid0(VALU_DEP_1) | instskip(SKIP_1) | instid1(VALU_DEP_2)
	v_fmac_f32_e32 v57, v60, v53
	v_fma_mix_f32 v60, -v32, v16, v16 op_sel_hi:[0,1,1]
	v_fma_f32 v51, -v51, v57, v58
	v_lshrrev_b32_e32 v58, 16, v16
	s_delay_alu instid0(VALU_DEP_2) | instskip(SKIP_2) | instid1(VALU_DEP_4)
	v_div_fmas_f32 v51, v51, v53, v57
	v_cvt_f32_f16_e32 v57, v16
	v_fma_mix_f32 v16, -v32, v16, v16 op_sel:[0,1,1] op_sel_hi:[0,1,1]
	v_cvt_f32_f16_e32 v58, v58
	s_mov_b32 vcc_lo, s3
	v_div_fixup_f32 v45, v51, v46, v50
	v_cndmask_b32_e64 v57, v57, v60, s2
	s_delay_alu instid0(VALU_DEP_3) | instskip(SKIP_1) | instid1(VALU_DEP_3)
	v_cndmask_b32_e64 v16, v58, v16, s2
	v_mul_f32_e32 v59, v55, v54
	v_sub_f32_e32 v42, v57, v42
	s_delay_alu instid0(VALU_DEP_2) | instskip(NEXT) | instid1(VALU_DEP_2)
	v_fma_f32 v61, -v52, v59, v55
	v_cvt_f16_f32_e32 v42, v42
	s_delay_alu instid0(VALU_DEP_2) | instskip(SKIP_2) | instid1(VALU_DEP_3)
	v_fmac_f32_e32 v59, v61, v54
	v_lshrrev_b32_e32 v61, 16, v15
	v_fma_mix_f32 v15, -v32, v15, v15 op_sel_hi:[0,1,1]
	v_fma_f32 v52, -v52, v59, v55
	s_delay_alu instid0(VALU_DEP_2) | instskip(NEXT) | instid1(VALU_DEP_2)
	v_cndmask_b32_e64 v15, v63, v15, s2
	v_div_fmas_f32 v52, v52, v54, v59
	s_delay_alu instid0(VALU_DEP_2) | instskip(NEXT) | instid1(VALU_DEP_2)
	v_sub_f32_e32 v15, v15, v45
	v_div_fixup_f32 v48, v52, v28, v48
	v_mul_f32_e32 v52, v34, v18
	s_delay_alu instid0(VALU_DEP_3) | instskip(NEXT) | instid1(VALU_DEP_3)
	v_cvt_f16_f32_e32 v15, v15
	v_add_f32_e32 v48, v48, v27
	s_delay_alu instid0(VALU_DEP_1) | instskip(SKIP_1) | instid1(VALU_DEP_2)
	v_div_scale_f32 v53, null, v48, v48, v52
	v_div_scale_f32 v56, vcc_lo, v52, v48, v52
	v_rcp_f32_e32 v54, v53
	s_waitcnt_depctr 0xfff
	v_fma_f32 v55, -v53, v54, 1.0
	s_delay_alu instid0(VALU_DEP_1) | instskip(NEXT) | instid1(VALU_DEP_1)
	v_fmac_f32_e32 v54, v55, v54
	v_mul_f32_e32 v55, v56, v54
	s_delay_alu instid0(VALU_DEP_1) | instskip(NEXT) | instid1(VALU_DEP_1)
	v_fma_f32 v59, -v53, v55, v56
	v_fmac_f32_e32 v55, v59, v54
	s_delay_alu instid0(VALU_DEP_1) | instskip(SKIP_1) | instid1(VALU_DEP_2)
	v_fma_f32 v53, -v53, v55, v56
	v_cvt_f32_f16_e32 v56, v61
	v_div_fmas_f32 v53, v53, v54, v55
	s_delay_alu instid0(VALU_DEP_2) | instskip(SKIP_1) | instid1(VALU_DEP_2)
	v_cndmask_b32_e64 v54, v56, v62, s2
	s_and_not1_b32 vcc_lo, exec_lo, s30
	v_div_fixup_f32 v44, v53, v48, v52
	s_delay_alu instid0(VALU_DEP_1) | instskip(NEXT) | instid1(VALU_DEP_1)
	v_dual_sub_f32 v43, v54, v43 :: v_dual_sub_f32 v16, v16, v44
	v_cvt_f16_f32_e32 v43, v43
	s_delay_alu instid0(VALU_DEP_2) | instskip(NEXT) | instid1(VALU_DEP_2)
	v_cvt_f16_f32_e32 v16, v16
	v_pack_b32_f16 v15, v15, v43
	s_delay_alu instid0(VALU_DEP_2)
	v_pack_b32_f16 v16, v42, v16
	global_store_b64 v[13:14], v[15:16], off
	s_cbranch_vccnz .LBB3_9
; %bb.19:                               ;   in Loop: Header=BB3_10 Depth=1
	v_cvt_f16_f32_e32 v13, v35
	v_cvt_f16_f32_e32 v15, v23
	;; [unrolled: 1-line block ×4, first 2 shown]
	s_delay_alu instid0(VALU_DEP_2) | instskip(NEXT) | instid1(VALU_DEP_2)
	v_pack_b32_f16 v14, v13, v14
	v_pack_b32_f16 v13, v1, v15
	global_store_b64 v[11:12], v[13:14], off
	s_branch .LBB3_9
.LBB3_20:
                                        ; implicit-def: $sgpr4
	v_mov_b32_e32 v29, s4
	s_branch .LBB3_2
.LBB3_21:
	s_or_b32 exec_lo, exec_lo, s28
	s_mov_b32 s2, 0
.LBB3_22:
	s_delay_alu instid0(SALU_CYCLE_1)
	s_and_not1_b32 vcc_lo, exec_lo, s2
	s_cbranch_vccnz .LBB3_100
; %bb.23:
	v_cmp_lt_i64_e64 s2, s[6:7], 1
	s_delay_alu instid0(VALU_DEP_1)
	s_and_b32 vcc_lo, exec_lo, s2
	s_cbranch_vccnz .LBB3_100
; %bb.24:
	v_div_scale_f32 v10, null, v30, v30, v29
	s_load_b32 s1, s[0:1], 0xd34
	v_div_scale_f32 v11, vcc_lo, v29, v30, v29
	s_delay_alu instid0(VALU_DEP_2) | instskip(SKIP_4) | instid1(VALU_DEP_4)
	v_rcp_f32_e32 v12, v10
	v_lshlrev_b32_e32 v23, 1, v0
	v_cmp_gt_u64_e64 s2, 0x10000, s[6:7]
	v_dual_mov_b32 v24, 0 :: v_dual_mul_f32 v1, v29, v31
	v_cmp_neq_f32_e64 s0, 0, v31
	v_add_co_u32 v2, s3, s14, v23
	s_delay_alu instid0(VALU_DEP_1) | instskip(NEXT) | instid1(TRANS32_DEP_1)
	v_add_co_ci_u32_e64 v3, null, s15, 0, s3
	v_fma_f32 v4, -v10, v12, 1.0
	s_delay_alu instid0(VALU_DEP_1) | instskip(SKIP_1) | instid1(VALU_DEP_1)
	v_fmac_f32_e32 v12, v4, v12
	v_add_co_u32 v4, s3, s20, v23
	v_add_co_ci_u32_e64 v5, null, s21, 0, s3
	s_delay_alu instid0(VALU_DEP_3)
	v_mul_f32_e32 v13, v11, v12
	v_add_co_u32 v6, s3, s24, v23
	s_waitcnt lgkmcnt(0)
	s_and_b32 s1, s1, 0xffff
	v_add_co_ci_u32_e64 v7, null, s25, 0, s3
	v_fma_f32 v14, -v10, v13, v11
	v_add_co_u32 v8, s3, s26, v23
	s_and_b32 s2, s2, exec_lo
	s_cselect_b32 s11, s7, 0
	s_delay_alu instid0(VALU_DEP_2) | instskip(SKIP_3) | instid1(VALU_DEP_2)
	v_fmac_f32_e32 v13, v14, v12
	s_cselect_b32 s10, s6, 0x10000
	s_lshl_b32 s2, s1, 1
	v_add_co_ci_u32_e64 v9, null, s27, 0, s3
	v_fma_f32 v14, -v10, v13, v11
	v_add_co_u32 v10, s3, s22, v23
	s_cmp_lg_u64 s[12:13], 0
	v_add_co_ci_u32_e64 v11, null, s23, 0, s3
	s_mul_i32 s3, s1, 3
	s_cselect_b32 s16, -1, 0
	s_lshl_b32 s17, s1, 2
	v_mad_u64_u32 v[21:22], null, s1, 6, v[23:24]
	v_add_co_u32 v38, s4, s17, v23
	v_add_co_u32 v23, s3, s3, v0
	s_delay_alu instid0(VALU_DEP_1) | instskip(SKIP_3) | instid1(VALU_DEP_3)
	v_add_co_ci_u32_e64 v24, null, 0, 0, s3
	v_add_co_u32 v37, s3, v0, s1
	v_add_co_ci_u32_e64 v39, null, 0, 0, s4
	v_add_co_u32 v41, s2, s2, v0
	v_lshlrev_b32_e32 v51, 1, v37
	v_div_fmas_f32 v12, v14, v12, v13
	v_add_co_u32 v13, vcc_lo, s14, v21
	v_add_co_ci_u32_e32 v14, vcc_lo, s15, v22, vcc_lo
	v_add_co_u32 v15, vcc_lo, s20, v21
	v_add_co_ci_u32_e32 v16, vcc_lo, s21, v22, vcc_lo
	;; [unrolled: 2-line block ×5, first 2 shown]
	v_div_fixup_f32 v12, v12, v30, v29
	v_add_co_u32 v29, vcc_lo, s14, v38
	v_add_co_ci_u32_e32 v30, vcc_lo, s15, v39, vcc_lo
	v_add_co_u32 v31, vcc_lo, s20, v38
	v_add_co_ci_u32_e64 v42, null, 0, 0, s2
	v_add_co_u32 v43, s2, s14, v51
	v_add_co_ci_u32_e32 v32, vcc_lo, s21, v39, vcc_lo
	v_add_co_u32 v33, vcc_lo, s24, v38
	v_add_co_ci_u32_e64 v44, null, s15, 0, s2
	v_add_co_u32 v45, s2, s20, v51
	v_add_co_ci_u32_e32 v34, vcc_lo, s25, v39, vcc_lo
	v_add_co_ci_u32_e64 v46, null, s21, 0, s2
	v_add_co_u32 v47, s2, s24, v51
	v_add_co_u32 v35, vcc_lo, s26, v38
	v_add_co_ci_u32_e64 v48, null, s25, 0, s2
	v_add_co_u32 v49, s2, s26, v51
	v_add_co_ci_u32_e32 v36, vcc_lo, s27, v39, vcc_lo
	v_add_co_u32 v38, vcc_lo, s22, v38
	v_add_co_ci_u32_e64 v50, null, s27, 0, s2
	v_add_co_u32 v51, s2, s22, v51
	v_add_co_ci_u32_e32 v39, vcc_lo, s23, v39, vcc_lo
	v_add_co_ci_u32_e64 v40, null, 0, 0, s3
	v_add_co_ci_u32_e64 v52, null, s23, 0, s2
	s_mov_b64 s[14:15], 0
	s_lshl_b32 s18, s1, 3
	s_branch .LBB3_26
.LBB3_25:                               ;   in Loop: Header=BB3_26 Depth=1
	s_or_b32 exec_lo, exec_lo, s1
	v_add_co_u32 v2, vcc_lo, v2, s18
	v_add_co_ci_u32_e32 v3, vcc_lo, 0, v3, vcc_lo
	v_add_co_u32 v4, vcc_lo, v4, s18
	v_add_co_ci_u32_e32 v5, vcc_lo, 0, v5, vcc_lo
	;; [unrolled: 2-line block ×17, first 2 shown]
	s_add_u32 s14, s14, s17
	v_add_co_u32 v47, vcc_lo, v47, s18
	s_addc_u32 s15, s15, 0
	v_add_co_ci_u32_e32 v48, vcc_lo, 0, v48, vcc_lo
	v_cmp_ge_i64_e64 s1, s[14:15], s[6:7]
	v_cmp_lt_u64_e64 s2, 0xffff, s[14:15]
	v_add_co_u32 v49, vcc_lo, v49, s18
	v_add_co_ci_u32_e32 v50, vcc_lo, 0, v50, vcc_lo
	v_add_co_u32 v51, vcc_lo, v51, s18
	v_add_co_ci_u32_e32 v52, vcc_lo, 0, v52, vcc_lo
	s_or_b32 s1, s1, s2
	s_delay_alu instid0(SALU_CYCLE_1)
	s_and_b32 vcc_lo, exec_lo, s1
	s_cbranch_vccnz .LBB3_100
.LBB3_26:                               ; =>This Inner Loop Header: Depth=1
	v_add_co_u32 v53, s1, v0, s14
	s_delay_alu instid0(VALU_DEP_1) | instskip(SKIP_2) | instid1(VALU_DEP_3)
	v_add_co_ci_u32_e64 v54, null, 0, s15, s1
	v_mov_b32_e32 v57, 0
	v_mov_b32_e32 v59, 0
	v_cmp_gt_u64_e64 s1, s[10:11], v[53:54]
	s_delay_alu instid0(VALU_DEP_1)
	s_and_saveexec_b32 s2, s1
	s_cbranch_execz .LBB3_28
; %bb.27:                               ;   in Loop: Header=BB3_26 Depth=1
	v_add_co_u32 v53, vcc_lo, v2, s8
	v_add_co_ci_u32_e32 v54, vcc_lo, s9, v3, vcc_lo
	v_add_co_u32 v55, vcc_lo, v4, s8
	v_add_co_ci_u32_e32 v56, vcc_lo, s9, v5, vcc_lo
	global_load_u16 v57, v[53:54], off
	global_load_u16 v59, v[55:56], off
.LBB3_28:                               ;   in Loop: Header=BB3_26 Depth=1
	s_or_b32 exec_lo, exec_lo, s2
	v_dual_mov_b32 v53, 0 :: v_dual_mov_b32 v66, 0
	v_mov_b32_e32 v58, 0
	s_and_saveexec_b32 s2, s1
	s_cbranch_execz .LBB3_30
; %bb.29:                               ;   in Loop: Header=BB3_26 Depth=1
	v_add_co_u32 v54, vcc_lo, v6, s8
	v_add_co_ci_u32_e32 v55, vcc_lo, s9, v7, vcc_lo
	v_add_co_u32 v60, vcc_lo, v8, s8
	v_add_co_ci_u32_e32 v61, vcc_lo, s9, v9, vcc_lo
	global_load_u16 v66, v[54:55], off
	global_load_u16 v58, v[60:61], off
.LBB3_30:                               ;   in Loop: Header=BB3_26 Depth=1
	s_or_b32 exec_lo, exec_lo, s2
	s_and_saveexec_b32 s2, s1
	s_cbranch_execz .LBB3_32
; %bb.31:                               ;   in Loop: Header=BB3_26 Depth=1
	v_add_co_u32 v53, vcc_lo, v10, s8
	v_add_co_ci_u32_e32 v54, vcc_lo, s9, v11, vcc_lo
	global_load_u16 v53, v[53:54], off
.LBB3_32:                               ;   in Loop: Header=BB3_26 Depth=1
	s_or_b32 exec_lo, exec_lo, s2
	v_add_co_u32 v54, vcc_lo, v37, s14
	v_add_co_ci_u32_e32 v55, vcc_lo, s15, v40, vcc_lo
	v_mov_b32_e32 v64, 0
	v_mov_b32_e32 v56, 0
	;; [unrolled: 1-line block ×3, first 2 shown]
	s_delay_alu instid0(VALU_DEP_4) | instskip(NEXT) | instid1(VALU_DEP_1)
	v_cmp_gt_u64_e64 s2, s[10:11], v[54:55]
	s_and_saveexec_b32 s3, s2
	s_cbranch_execz .LBB3_34
; %bb.33:                               ;   in Loop: Header=BB3_26 Depth=1
	v_add_co_u32 v54, vcc_lo, v43, s8
	v_add_co_ci_u32_e32 v55, vcc_lo, s9, v44, vcc_lo
	v_add_co_u32 v60, vcc_lo, v45, s8
	v_add_co_ci_u32_e32 v61, vcc_lo, s9, v46, vcc_lo
	global_load_u16 v56, v[54:55], off
	global_load_u16 v60, v[60:61], off
.LBB3_34:                               ;   in Loop: Header=BB3_26 Depth=1
	s_or_b32 exec_lo, exec_lo, s3
	v_mov_b32_e32 v70, 0
	s_and_saveexec_b32 s3, s2
	s_cbranch_execz .LBB3_36
; %bb.35:                               ;   in Loop: Header=BB3_26 Depth=1
	v_add_co_u32 v54, vcc_lo, v47, s8
	v_add_co_ci_u32_e32 v55, vcc_lo, s9, v48, vcc_lo
	v_add_co_u32 v61, vcc_lo, v49, s8
	v_add_co_ci_u32_e32 v62, vcc_lo, s9, v50, vcc_lo
	global_load_u16 v64, v[54:55], off
	global_load_u16 v70, v[61:62], off
.LBB3_36:                               ;   in Loop: Header=BB3_26 Depth=1
	s_or_b32 exec_lo, exec_lo, s3
	v_mov_b32_e32 v54, 0
	v_mov_b32_e32 v72, 0
	s_and_saveexec_b32 s3, s2
	s_cbranch_execz .LBB3_38
; %bb.37:                               ;   in Loop: Header=BB3_26 Depth=1
	v_add_co_u32 v61, vcc_lo, v51, s8
	v_add_co_ci_u32_e32 v62, vcc_lo, s9, v52, vcc_lo
	global_load_u16 v72, v[61:62], off
.LBB3_38:                               ;   in Loop: Header=BB3_26 Depth=1
	s_or_b32 exec_lo, exec_lo, s3
	v_add_co_u32 v61, vcc_lo, v41, s14
	v_add_co_ci_u32_e32 v62, vcc_lo, s15, v42, vcc_lo
	s_delay_alu instid0(VALU_DEP_1) | instskip(SKIP_1) | instid1(VALU_DEP_2)
	v_cmp_gt_u64_e64 s3, s[10:11], v[61:62]
	v_mov_b32_e32 v62, 0
	s_and_saveexec_b32 s4, s3
	s_cbranch_execz .LBB3_40
; %bb.39:                               ;   in Loop: Header=BB3_26 Depth=1
	v_add_co_u32 v54, vcc_lo, v29, s8
	v_add_co_ci_u32_e32 v55, vcc_lo, s9, v30, vcc_lo
	v_add_co_u32 v61, vcc_lo, v31, s8
	v_add_co_ci_u32_e32 v62, vcc_lo, s9, v32, vcc_lo
	global_load_u16 v54, v[54:55], off
	global_load_u16 v62, v[61:62], off
.LBB3_40:                               ;   in Loop: Header=BB3_26 Depth=1
	s_or_b32 exec_lo, exec_lo, s4
	v_dual_mov_b32 v67, 0 :: v_dual_mov_b32 v68, 0
	v_mov_b32_e32 v69, 0
	s_and_saveexec_b32 s4, s3
	s_cbranch_execz .LBB3_42
; %bb.41:                               ;   in Loop: Header=BB3_26 Depth=1
	v_add_co_u32 v68, vcc_lo, v33, s8
	v_add_co_ci_u32_e32 v69, vcc_lo, s9, v34, vcc_lo
	v_add_co_u32 v73, vcc_lo, v35, s8
	v_add_co_ci_u32_e32 v74, vcc_lo, s9, v36, vcc_lo
	global_load_u16 v68, v[68:69], off
	global_load_u16 v69, v[73:74], off
.LBB3_42:                               ;   in Loop: Header=BB3_26 Depth=1
	s_or_b32 exec_lo, exec_lo, s4
	s_and_saveexec_b32 s4, s3
	s_cbranch_execz .LBB3_44
; %bb.43:                               ;   in Loop: Header=BB3_26 Depth=1
	v_add_co_u32 v73, vcc_lo, v38, s8
	v_add_co_ci_u32_e32 v74, vcc_lo, s9, v39, vcc_lo
	global_load_u16 v67, v[73:74], off
.LBB3_44:                               ;   in Loop: Header=BB3_26 Depth=1
	s_or_b32 exec_lo, exec_lo, s4
	v_add_co_u32 v73, vcc_lo, v23, s14
	v_add_co_ci_u32_e32 v74, vcc_lo, s15, v24, vcc_lo
	v_mov_b32_e32 v61, 0
	v_mov_b32_e32 v55, 0
	v_mov_b32_e32 v63, 0
	s_delay_alu instid0(VALU_DEP_4) | instskip(NEXT) | instid1(VALU_DEP_1)
	v_cmp_gt_u64_e64 s4, s[10:11], v[73:74]
	s_and_saveexec_b32 s5, s4
	s_cbranch_execnz .LBB3_82
; %bb.45:                               ;   in Loop: Header=BB3_26 Depth=1
	s_or_b32 exec_lo, exec_lo, s5
	v_mov_b32_e32 v65, 0
	s_and_saveexec_b32 s5, s4
	s_cbranch_execnz .LBB3_83
.LBB3_46:                               ;   in Loop: Header=BB3_26 Depth=1
	s_or_b32 exec_lo, exec_lo, s5
	v_mov_b32_e32 v71, 0
	s_and_saveexec_b32 s5, s4
	s_cbranch_execnz .LBB3_84
.LBB3_47:                               ;   in Loop: Header=BB3_26 Depth=1
	s_or_b32 exec_lo, exec_lo, s5
	s_waitcnt vmcnt(0)
	v_cvt_f32_f16_e32 v59, v59
	s_and_not1_b32 vcc_lo, exec_lo, s16
	s_cbranch_vccnz .LBB3_49
.LBB3_48:                               ;   in Loop: Header=BB3_26 Depth=1
	s_load_b32 s5, s[12:13], 0x0
	s_waitcnt lgkmcnt(0)
	v_div_scale_f32 v73, null, s5, s5, v59
	s_delay_alu instid0(VALU_DEP_1) | instskip(SKIP_2) | instid1(VALU_DEP_1)
	v_rcp_f32_e32 v74, v73
	s_waitcnt_depctr 0xfff
	v_fma_f32 v75, -v73, v74, 1.0
	v_fmac_f32_e32 v74, v75, v74
	v_div_scale_f32 v75, vcc_lo, v59, s5, v59
	s_delay_alu instid0(VALU_DEP_1) | instskip(NEXT) | instid1(VALU_DEP_1)
	v_mul_f32_e32 v76, v75, v74
	v_fma_f32 v77, -v73, v76, v75
	s_delay_alu instid0(VALU_DEP_1) | instskip(NEXT) | instid1(VALU_DEP_1)
	v_fmac_f32_e32 v76, v77, v74
	v_fma_f32 v73, -v73, v76, v75
	s_delay_alu instid0(VALU_DEP_1) | instskip(NEXT) | instid1(VALU_DEP_1)
	v_div_fmas_f32 v73, v73, v74, v76
	v_div_fixup_f32 v59, v73, s5, v59
.LBB3_49:                               ;   in Loop: Header=BB3_26 Depth=1
	v_cvt_f32_f16_e32 v60, v60
	s_and_not1_b32 vcc_lo, exec_lo, s16
	s_cbranch_vccnz .LBB3_51
; %bb.50:                               ;   in Loop: Header=BB3_26 Depth=1
	s_load_b32 s5, s[12:13], 0x0
	s_waitcnt lgkmcnt(0)
	v_div_scale_f32 v73, null, s5, s5, v60
	s_delay_alu instid0(VALU_DEP_1) | instskip(SKIP_2) | instid1(VALU_DEP_1)
	v_rcp_f32_e32 v74, v73
	s_waitcnt_depctr 0xfff
	v_fma_f32 v75, -v73, v74, 1.0
	v_fmac_f32_e32 v74, v75, v74
	v_div_scale_f32 v75, vcc_lo, v60, s5, v60
	s_delay_alu instid0(VALU_DEP_1) | instskip(NEXT) | instid1(VALU_DEP_1)
	v_mul_f32_e32 v76, v75, v74
	v_fma_f32 v77, -v73, v76, v75
	s_delay_alu instid0(VALU_DEP_1) | instskip(NEXT) | instid1(VALU_DEP_1)
	v_fmac_f32_e32 v76, v77, v74
	v_fma_f32 v73, -v73, v76, v75
	s_delay_alu instid0(VALU_DEP_1) | instskip(NEXT) | instid1(VALU_DEP_1)
	v_div_fmas_f32 v73, v73, v74, v76
	v_div_fixup_f32 v60, v73, s5, v60
.LBB3_51:                               ;   in Loop: Header=BB3_26 Depth=1
	v_cvt_f32_f16_e32 v62, v62
	s_and_not1_b32 vcc_lo, exec_lo, s16
	s_cbranch_vccnz .LBB3_53
; %bb.52:                               ;   in Loop: Header=BB3_26 Depth=1
	s_load_b32 s5, s[12:13], 0x0
	s_waitcnt lgkmcnt(0)
	v_div_scale_f32 v73, null, s5, s5, v62
	s_delay_alu instid0(VALU_DEP_1) | instskip(SKIP_2) | instid1(VALU_DEP_1)
	v_rcp_f32_e32 v74, v73
	s_waitcnt_depctr 0xfff
	v_fma_f32 v75, -v73, v74, 1.0
	v_fmac_f32_e32 v74, v75, v74
	v_div_scale_f32 v75, vcc_lo, v62, s5, v62
	s_delay_alu instid0(VALU_DEP_1) | instskip(NEXT) | instid1(VALU_DEP_1)
	v_mul_f32_e32 v76, v75, v74
	v_fma_f32 v77, -v73, v76, v75
	s_delay_alu instid0(VALU_DEP_1) | instskip(NEXT) | instid1(VALU_DEP_1)
	v_fmac_f32_e32 v76, v77, v74
	v_fma_f32 v73, -v73, v76, v75
	s_delay_alu instid0(VALU_DEP_1) | instskip(NEXT) | instid1(VALU_DEP_1)
	v_div_fmas_f32 v73, v73, v74, v76
	v_div_fixup_f32 v62, v73, s5, v62
.LBB3_53:                               ;   in Loop: Header=BB3_26 Depth=1
	;; [unrolled: 23-line block ×3, first 2 shown]
	v_cndmask_b32_e64 v73, v59, -v59, s33
	v_cvt_f32_f16_e32 v53, v53
	s_delay_alu instid0(VALU_DEP_2) | instskip(SKIP_1) | instid1(VALU_DEP_2)
	v_mul_f32_e32 v74, v73, v73
	v_fma_f32 v73, -v25, v73, v73
	v_fma_f32 v74, -v26, v74, v74
	s_delay_alu instid0(VALU_DEP_2) | instskip(NEXT) | instid1(VALU_DEP_2)
	v_fma_mix_f32 v66, v25, v66, v73 op_sel_hi:[0,1,0]
	v_fma_mix_f32 v58, v26, v58, v74 op_sel_hi:[0,1,0]
	s_delay_alu instid0(VALU_DEP_1)
	v_max_f32_e32 v53, v53, v58
	s_and_saveexec_b32 s19, s1
	s_cbranch_execz .LBB3_57
; %bb.56:                               ;   in Loop: Header=BB3_26 Depth=1
	s_delay_alu instid0(VALU_DEP_1) | instskip(SKIP_1) | instid1(VALU_DEP_2)
	v_mul_f32_e32 v73, 0x4f800000, v53
	v_cmp_gt_f32_e32 vcc_lo, 0xf800000, v53
	v_cndmask_b32_e32 v73, v53, v73, vcc_lo
	s_delay_alu instid0(VALU_DEP_1) | instskip(SKIP_3) | instid1(VALU_DEP_2)
	v_sqrt_f32_e32 v74, v73
	s_waitcnt_depctr 0xfff
	v_add_nc_u32_e32 v75, -1, v74
	v_add_nc_u32_e32 v76, 1, v74
	v_fma_f32 v77, -v75, v74, v73
	s_delay_alu instid0(VALU_DEP_2) | instskip(NEXT) | instid1(VALU_DEP_2)
	v_fma_f32 v78, -v76, v74, v73
	v_cmp_ge_f32_e64 s5, 0, v77
	s_delay_alu instid0(VALU_DEP_1) | instskip(NEXT) | instid1(VALU_DEP_3)
	v_cndmask_b32_e64 v74, v74, v75, s5
	v_cmp_lt_f32_e64 s5, 0, v78
	s_delay_alu instid0(VALU_DEP_1) | instskip(NEXT) | instid1(VALU_DEP_1)
	v_cndmask_b32_e64 v74, v74, v76, s5
	v_mul_f32_e32 v75, 0x37800000, v74
	s_delay_alu instid0(VALU_DEP_1) | instskip(SKIP_1) | instid1(VALU_DEP_2)
	v_cndmask_b32_e32 v74, v74, v75, vcc_lo
	v_cmp_class_f32_e64 vcc_lo, v73, 0x260
	v_cndmask_b32_e32 v73, v74, v73, vcc_lo
	s_delay_alu instid0(VALU_DEP_1) | instskip(SKIP_1) | instid1(VALU_DEP_2)
	v_div_scale_f32 v74, null, v28, v28, v73
	v_div_scale_f32 v77, vcc_lo, v73, v28, v73
	v_rcp_f32_e32 v75, v74
	s_waitcnt_depctr 0xfff
	v_fma_f32 v76, -v74, v75, 1.0
	s_delay_alu instid0(VALU_DEP_1) | instskip(NEXT) | instid1(VALU_DEP_1)
	v_fmac_f32_e32 v75, v76, v75
	v_mul_f32_e32 v76, v77, v75
	s_delay_alu instid0(VALU_DEP_1) | instskip(NEXT) | instid1(VALU_DEP_1)
	v_fma_f32 v78, -v74, v76, v77
	v_fmac_f32_e32 v76, v78, v75
	s_delay_alu instid0(VALU_DEP_1) | instskip(NEXT) | instid1(VALU_DEP_1)
	v_fma_f32 v74, -v74, v76, v77
	v_div_fmas_f32 v74, v74, v75, v76
	s_delay_alu instid0(VALU_DEP_1) | instskip(NEXT) | instid1(VALU_DEP_1)
	v_div_fixup_f32 v73, v74, v28, v73
	v_dual_mul_f32 v74, v12, v66 :: v_dual_add_f32 v73, v73, v27
	s_delay_alu instid0(VALU_DEP_1) | instskip(SKIP_1) | instid1(VALU_DEP_2)
	v_div_scale_f32 v75, null, v73, v73, v74
	v_div_scale_f32 v78, vcc_lo, v74, v73, v74
	v_rcp_f32_e32 v76, v75
	s_waitcnt_depctr 0xfff
	v_fma_f32 v77, -v75, v76, 1.0
	s_delay_alu instid0(VALU_DEP_1) | instskip(NEXT) | instid1(VALU_DEP_1)
	v_fmac_f32_e32 v76, v77, v76
	v_mul_f32_e32 v77, v78, v76
	s_delay_alu instid0(VALU_DEP_1) | instskip(NEXT) | instid1(VALU_DEP_1)
	v_fma_f32 v79, -v75, v77, v78
	v_fmac_f32_e32 v77, v79, v76
	s_delay_alu instid0(VALU_DEP_1) | instskip(SKIP_2) | instid1(VALU_DEP_3)
	v_fma_f32 v75, -v75, v77, v78
	v_cvt_f32_f16_e32 v78, v57
	v_fma_mix_f32 v57, -v1, v57, v57 op_sel_hi:[0,1,1]
	v_div_fmas_f32 v75, v75, v76, v77
	s_delay_alu instid0(VALU_DEP_2) | instskip(NEXT) | instid1(VALU_DEP_2)
	v_cndmask_b32_e64 v57, v78, v57, s0
	v_div_fixup_f32 v73, v75, v73, v74
	s_delay_alu instid0(VALU_DEP_1) | instskip(SKIP_2) | instid1(VALU_DEP_3)
	v_sub_f32_e32 v57, v57, v73
	v_add_co_u32 v73, vcc_lo, v2, s8
	v_add_co_ci_u32_e32 v74, vcc_lo, s9, v3, vcc_lo
	v_cvt_f16_f32_e32 v57, v57
	global_store_b16 v[73:74], v57, off
.LBB3_57:                               ;   in Loop: Header=BB3_26 Depth=1
	s_or_b32 exec_lo, exec_lo, s19
	v_cndmask_b32_e64 v57, v60, -v60, s33
	v_cvt_f32_f16_e32 v72, v72
	s_delay_alu instid0(VALU_DEP_2) | instskip(SKIP_1) | instid1(VALU_DEP_2)
	v_mul_f32_e32 v73, v57, v57
	v_fma_f32 v57, -v25, v57, v57
	v_fma_f32 v73, -v26, v73, v73
	s_delay_alu instid0(VALU_DEP_2) | instskip(NEXT) | instid1(VALU_DEP_2)
	v_fma_mix_f32 v64, v25, v64, v57 op_sel_hi:[0,1,0]
	v_fma_mix_f32 v70, v26, v70, v73 op_sel_hi:[0,1,0]
	s_delay_alu instid0(VALU_DEP_1)
	v_max_f32_e32 v57, v72, v70
	s_and_saveexec_b32 s19, s2
	s_cbranch_execz .LBB3_59
; %bb.58:                               ;   in Loop: Header=BB3_26 Depth=1
	s_delay_alu instid0(VALU_DEP_1) | instskip(SKIP_1) | instid1(VALU_DEP_1)
	v_cmp_gt_f32_e32 vcc_lo, 0xf800000, v57
	v_mul_f32_e32 v72, 0x4f800000, v57
	v_cndmask_b32_e32 v72, v57, v72, vcc_lo
	s_delay_alu instid0(VALU_DEP_1) | instskip(SKIP_3) | instid1(VALU_DEP_2)
	v_sqrt_f32_e32 v73, v72
	s_waitcnt_depctr 0xfff
	v_add_nc_u32_e32 v75, 1, v73
	v_add_nc_u32_e32 v74, -1, v73
	v_fma_f32 v77, -v75, v73, v72
	s_delay_alu instid0(VALU_DEP_2) | instskip(NEXT) | instid1(VALU_DEP_1)
	v_fma_f32 v76, -v74, v73, v72
	v_cmp_ge_f32_e64 s5, 0, v76
	s_delay_alu instid0(VALU_DEP_1) | instskip(NEXT) | instid1(VALU_DEP_4)
	v_cndmask_b32_e64 v73, v73, v74, s5
	v_cmp_lt_f32_e64 s5, 0, v77
	s_delay_alu instid0(VALU_DEP_1) | instskip(NEXT) | instid1(VALU_DEP_1)
	v_cndmask_b32_e64 v73, v73, v75, s5
	v_mul_f32_e32 v74, 0x37800000, v73
	s_delay_alu instid0(VALU_DEP_1) | instskip(SKIP_1) | instid1(VALU_DEP_2)
	v_cndmask_b32_e32 v73, v73, v74, vcc_lo
	v_cmp_class_f32_e64 vcc_lo, v72, 0x260
	v_cndmask_b32_e32 v72, v73, v72, vcc_lo
	s_delay_alu instid0(VALU_DEP_1) | instskip(SKIP_1) | instid1(VALU_DEP_2)
	v_div_scale_f32 v73, null, v28, v28, v72
	v_div_scale_f32 v76, vcc_lo, v72, v28, v72
	v_rcp_f32_e32 v74, v73
	s_waitcnt_depctr 0xfff
	v_fma_f32 v75, -v73, v74, 1.0
	s_delay_alu instid0(VALU_DEP_1) | instskip(NEXT) | instid1(VALU_DEP_1)
	v_fmac_f32_e32 v74, v75, v74
	v_mul_f32_e32 v75, v76, v74
	s_delay_alu instid0(VALU_DEP_1) | instskip(NEXT) | instid1(VALU_DEP_1)
	v_fma_f32 v77, -v73, v75, v76
	v_fmac_f32_e32 v75, v77, v74
	s_delay_alu instid0(VALU_DEP_1) | instskip(NEXT) | instid1(VALU_DEP_1)
	v_fma_f32 v73, -v73, v75, v76
	v_div_fmas_f32 v73, v73, v74, v75
	s_delay_alu instid0(VALU_DEP_1) | instskip(SKIP_1) | instid1(VALU_DEP_2)
	v_div_fixup_f32 v72, v73, v28, v72
	v_mul_f32_e32 v73, v12, v64
	v_add_f32_e32 v72, v72, v27
	s_delay_alu instid0(VALU_DEP_1) | instskip(SKIP_1) | instid1(VALU_DEP_2)
	v_div_scale_f32 v74, null, v72, v72, v73
	v_div_scale_f32 v77, vcc_lo, v73, v72, v73
	v_rcp_f32_e32 v75, v74
	s_waitcnt_depctr 0xfff
	v_fma_f32 v76, -v74, v75, 1.0
	s_delay_alu instid0(VALU_DEP_1) | instskip(NEXT) | instid1(VALU_DEP_1)
	v_fmac_f32_e32 v75, v76, v75
	v_mul_f32_e32 v76, v77, v75
	s_delay_alu instid0(VALU_DEP_1) | instskip(NEXT) | instid1(VALU_DEP_1)
	v_fma_f32 v78, -v74, v76, v77
	v_fmac_f32_e32 v76, v78, v75
	s_delay_alu instid0(VALU_DEP_1) | instskip(SKIP_2) | instid1(VALU_DEP_3)
	v_fma_f32 v74, -v74, v76, v77
	v_cvt_f32_f16_e32 v77, v56
	v_fma_mix_f32 v56, -v1, v56, v56 op_sel_hi:[0,1,1]
	v_div_fmas_f32 v74, v74, v75, v76
	s_delay_alu instid0(VALU_DEP_2) | instskip(NEXT) | instid1(VALU_DEP_2)
	v_cndmask_b32_e64 v56, v77, v56, s0
	v_div_fixup_f32 v72, v74, v72, v73
	s_delay_alu instid0(VALU_DEP_1) | instskip(SKIP_2) | instid1(VALU_DEP_3)
	v_sub_f32_e32 v56, v56, v72
	v_add_co_u32 v72, vcc_lo, v43, s8
	v_add_co_ci_u32_e32 v73, vcc_lo, s9, v44, vcc_lo
	v_cvt_f16_f32_e32 v56, v56
	global_store_b16 v[72:73], v56, off
.LBB3_59:                               ;   in Loop: Header=BB3_26 Depth=1
	s_or_b32 exec_lo, exec_lo, s19
	v_cndmask_b32_e64 v56, v62, -v62, s33
	v_cvt_f32_f16_e32 v73, v67
	s_delay_alu instid0(VALU_DEP_2) | instskip(SKIP_1) | instid1(VALU_DEP_2)
	v_mul_f32_e32 v72, v56, v56
	v_fma_f32 v56, -v25, v56, v56
	v_fma_f32 v72, -v26, v72, v72
	s_delay_alu instid0(VALU_DEP_2) | instskip(NEXT) | instid1(VALU_DEP_2)
	v_fma_mix_f32 v68, v25, v68, v56 op_sel_hi:[0,1,0]
	v_fma_mix_f32 v67, v26, v69, v72 op_sel_hi:[0,1,0]
	s_delay_alu instid0(VALU_DEP_1)
	v_max_f32_e32 v56, v73, v67
	s_and_saveexec_b32 s19, s3
	s_cbranch_execz .LBB3_61
; %bb.60:                               ;   in Loop: Header=BB3_26 Depth=1
	s_delay_alu instid0(VALU_DEP_1) | instskip(SKIP_1) | instid1(VALU_DEP_1)
	v_cmp_gt_f32_e32 vcc_lo, 0xf800000, v56
	v_mul_f32_e32 v69, 0x4f800000, v56
	v_cndmask_b32_e32 v69, v56, v69, vcc_lo
	s_delay_alu instid0(VALU_DEP_1) | instskip(SKIP_3) | instid1(VALU_DEP_2)
	v_sqrt_f32_e32 v72, v69
	s_waitcnt_depctr 0xfff
	v_add_nc_u32_e32 v74, 1, v72
	v_add_nc_u32_e32 v73, -1, v72
	v_fma_f32 v76, -v74, v72, v69
	s_delay_alu instid0(VALU_DEP_2) | instskip(NEXT) | instid1(VALU_DEP_1)
	v_fma_f32 v75, -v73, v72, v69
	v_cmp_ge_f32_e64 s5, 0, v75
	s_delay_alu instid0(VALU_DEP_1) | instskip(NEXT) | instid1(VALU_DEP_4)
	v_cndmask_b32_e64 v72, v72, v73, s5
	v_cmp_lt_f32_e64 s5, 0, v76
	s_delay_alu instid0(VALU_DEP_1) | instskip(NEXT) | instid1(VALU_DEP_1)
	v_cndmask_b32_e64 v72, v72, v74, s5
	v_mul_f32_e32 v73, 0x37800000, v72
	s_delay_alu instid0(VALU_DEP_1) | instskip(SKIP_1) | instid1(VALU_DEP_2)
	v_cndmask_b32_e32 v72, v72, v73, vcc_lo
	v_cmp_class_f32_e64 vcc_lo, v69, 0x260
	v_cndmask_b32_e32 v69, v72, v69, vcc_lo
	s_delay_alu instid0(VALU_DEP_1) | instskip(SKIP_1) | instid1(VALU_DEP_2)
	v_div_scale_f32 v72, null, v28, v28, v69
	v_div_scale_f32 v75, vcc_lo, v69, v28, v69
	v_rcp_f32_e32 v73, v72
	s_waitcnt_depctr 0xfff
	v_fma_f32 v74, -v72, v73, 1.0
	s_delay_alu instid0(VALU_DEP_1) | instskip(NEXT) | instid1(VALU_DEP_1)
	v_fmac_f32_e32 v73, v74, v73
	v_mul_f32_e32 v74, v75, v73
	s_delay_alu instid0(VALU_DEP_1) | instskip(NEXT) | instid1(VALU_DEP_1)
	v_fma_f32 v76, -v72, v74, v75
	v_fmac_f32_e32 v74, v76, v73
	s_delay_alu instid0(VALU_DEP_1) | instskip(NEXT) | instid1(VALU_DEP_1)
	v_fma_f32 v72, -v72, v74, v75
	v_div_fmas_f32 v72, v72, v73, v74
	s_delay_alu instid0(VALU_DEP_1) | instskip(NEXT) | instid1(VALU_DEP_1)
	v_div_fixup_f32 v69, v72, v28, v69
	v_dual_mul_f32 v72, v12, v68 :: v_dual_add_f32 v69, v69, v27
	s_delay_alu instid0(VALU_DEP_1) | instskip(SKIP_1) | instid1(VALU_DEP_2)
	v_div_scale_f32 v73, null, v69, v69, v72
	v_div_scale_f32 v76, vcc_lo, v72, v69, v72
	v_rcp_f32_e32 v74, v73
	s_waitcnt_depctr 0xfff
	v_fma_f32 v75, -v73, v74, 1.0
	s_delay_alu instid0(VALU_DEP_1) | instskip(NEXT) | instid1(VALU_DEP_1)
	v_fmac_f32_e32 v74, v75, v74
	v_mul_f32_e32 v75, v76, v74
	s_delay_alu instid0(VALU_DEP_1) | instskip(NEXT) | instid1(VALU_DEP_1)
	v_fma_f32 v77, -v73, v75, v76
	v_fmac_f32_e32 v75, v77, v74
	s_delay_alu instid0(VALU_DEP_1) | instskip(SKIP_2) | instid1(VALU_DEP_3)
	v_fma_f32 v73, -v73, v75, v76
	v_cvt_f32_f16_e32 v76, v54
	v_fma_mix_f32 v54, -v1, v54, v54 op_sel_hi:[0,1,1]
	v_div_fmas_f32 v73, v73, v74, v75
	s_delay_alu instid0(VALU_DEP_2) | instskip(NEXT) | instid1(VALU_DEP_2)
	v_cndmask_b32_e64 v54, v76, v54, s0
	v_div_fixup_f32 v69, v73, v69, v72
	v_add_co_u32 v72, vcc_lo, v29, s8
	v_add_co_ci_u32_e32 v73, vcc_lo, s9, v30, vcc_lo
	s_delay_alu instid0(VALU_DEP_3) | instskip(NEXT) | instid1(VALU_DEP_1)
	v_sub_f32_e32 v54, v54, v69
	v_cvt_f16_f32_e32 v54, v54
	global_store_b16 v[72:73], v54, off
.LBB3_61:                               ;   in Loop: Header=BB3_26 Depth=1
	s_or_b32 exec_lo, exec_lo, s19
	v_cndmask_b32_e64 v54, v63, -v63, s33
	s_waitcnt vmcnt(0)
	v_cvt_f32_f16_e32 v71, v71
	s_delay_alu instid0(VALU_DEP_2) | instskip(SKIP_1) | instid1(VALU_DEP_2)
	v_mul_f32_e32 v69, v54, v54
	v_fma_f32 v54, -v25, v54, v54
	v_fma_f32 v69, -v26, v69, v69
	s_delay_alu instid0(VALU_DEP_2) | instskip(NEXT) | instid1(VALU_DEP_2)
	v_fma_mix_f32 v61, v25, v61, v54 op_sel_hi:[0,1,0]
	v_fma_mix_f32 v65, v26, v65, v69 op_sel_hi:[0,1,0]
	s_delay_alu instid0(VALU_DEP_1)
	v_max_f32_e32 v54, v71, v65
	s_and_saveexec_b32 s19, s4
	s_cbranch_execz .LBB3_63
; %bb.62:                               ;   in Loop: Header=BB3_26 Depth=1
	s_delay_alu instid0(VALU_DEP_1) | instskip(SKIP_1) | instid1(VALU_DEP_2)
	v_mul_f32_e32 v69, 0x4f800000, v54
	v_cmp_gt_f32_e32 vcc_lo, 0xf800000, v54
	v_cndmask_b32_e32 v69, v54, v69, vcc_lo
	s_delay_alu instid0(VALU_DEP_1) | instskip(SKIP_3) | instid1(VALU_DEP_2)
	v_sqrt_f32_e32 v71, v69
	s_waitcnt_depctr 0xfff
	v_add_nc_u32_e32 v72, -1, v71
	v_add_nc_u32_e32 v73, 1, v71
	v_fma_f32 v74, -v72, v71, v69
	s_delay_alu instid0(VALU_DEP_2) | instskip(NEXT) | instid1(VALU_DEP_2)
	v_fma_f32 v75, -v73, v71, v69
	v_cmp_ge_f32_e64 s5, 0, v74
	s_delay_alu instid0(VALU_DEP_1) | instskip(NEXT) | instid1(VALU_DEP_3)
	v_cndmask_b32_e64 v71, v71, v72, s5
	v_cmp_lt_f32_e64 s5, 0, v75
	s_delay_alu instid0(VALU_DEP_1) | instskip(NEXT) | instid1(VALU_DEP_1)
	v_cndmask_b32_e64 v71, v71, v73, s5
	v_mul_f32_e32 v72, 0x37800000, v71
	s_delay_alu instid0(VALU_DEP_1) | instskip(SKIP_1) | instid1(VALU_DEP_2)
	v_cndmask_b32_e32 v71, v71, v72, vcc_lo
	v_cmp_class_f32_e64 vcc_lo, v69, 0x260
	v_cndmask_b32_e32 v69, v71, v69, vcc_lo
	s_delay_alu instid0(VALU_DEP_1) | instskip(NEXT) | instid1(VALU_DEP_1)
	v_div_scale_f32 v71, null, v28, v28, v69
	v_rcp_f32_e32 v72, v71
	s_waitcnt_depctr 0xfff
	v_fma_f32 v73, -v71, v72, 1.0
	s_delay_alu instid0(VALU_DEP_1) | instskip(SKIP_1) | instid1(VALU_DEP_1)
	v_fmac_f32_e32 v72, v73, v72
	v_div_scale_f32 v74, vcc_lo, v69, v28, v69
	v_mul_f32_e32 v73, v74, v72
	s_delay_alu instid0(VALU_DEP_1) | instskip(NEXT) | instid1(VALU_DEP_1)
	v_fma_f32 v75, -v71, v73, v74
	v_fmac_f32_e32 v73, v75, v72
	s_delay_alu instid0(VALU_DEP_1) | instskip(NEXT) | instid1(VALU_DEP_1)
	v_fma_f32 v71, -v71, v73, v74
	v_div_fmas_f32 v71, v71, v72, v73
	s_delay_alu instid0(VALU_DEP_1) | instskip(SKIP_1) | instid1(VALU_DEP_2)
	v_div_fixup_f32 v69, v71, v28, v69
	v_mul_f32_e32 v71, v12, v61
	v_add_f32_e32 v69, v69, v27
	s_delay_alu instid0(VALU_DEP_1) | instskip(SKIP_1) | instid1(VALU_DEP_2)
	v_div_scale_f32 v72, null, v69, v69, v71
	v_div_scale_f32 v75, vcc_lo, v71, v69, v71
	v_rcp_f32_e32 v73, v72
	s_waitcnt_depctr 0xfff
	v_fma_f32 v74, -v72, v73, 1.0
	s_delay_alu instid0(VALU_DEP_1) | instskip(NEXT) | instid1(VALU_DEP_1)
	v_fmac_f32_e32 v73, v74, v73
	v_mul_f32_e32 v74, v75, v73
	s_delay_alu instid0(VALU_DEP_1) | instskip(NEXT) | instid1(VALU_DEP_1)
	v_fma_f32 v76, -v72, v74, v75
	v_fmac_f32_e32 v74, v76, v73
	s_delay_alu instid0(VALU_DEP_1) | instskip(SKIP_2) | instid1(VALU_DEP_3)
	v_fma_f32 v72, -v72, v74, v75
	v_cvt_f32_f16_e32 v75, v55
	v_fma_mix_f32 v55, -v1, v55, v55 op_sel_hi:[0,1,1]
	v_div_fmas_f32 v72, v72, v73, v74
	s_delay_alu instid0(VALU_DEP_2) | instskip(NEXT) | instid1(VALU_DEP_2)
	v_cndmask_b32_e64 v55, v75, v55, s0
	v_div_fixup_f32 v69, v72, v69, v71
	v_add_co_u32 v71, vcc_lo, v13, s8
	v_add_co_ci_u32_e32 v72, vcc_lo, s9, v14, vcc_lo
	s_delay_alu instid0(VALU_DEP_3) | instskip(NEXT) | instid1(VALU_DEP_1)
	v_sub_f32_e32 v55, v55, v69
	v_cvt_f16_f32_e32 v55, v55
	global_store_b16 v[71:72], v55, off
.LBB3_63:                               ;   in Loop: Header=BB3_26 Depth=1
	s_or_b32 exec_lo, exec_lo, s19
	s_delay_alu instid0(SALU_CYCLE_1)
	s_and_not1_b32 vcc_lo, exec_lo, s16
	s_cbranch_vccnz .LBB3_70
; %bb.64:                               ;   in Loop: Header=BB3_26 Depth=1
	s_and_saveexec_b32 s5, s1
	s_cbranch_execnz .LBB3_97
; %bb.65:                               ;   in Loop: Header=BB3_26 Depth=1
	s_or_b32 exec_lo, exec_lo, s5
	s_and_saveexec_b32 s5, s2
	s_cbranch_execnz .LBB3_98
.LBB3_66:                               ;   in Loop: Header=BB3_26 Depth=1
	s_or_b32 exec_lo, exec_lo, s5
	s_and_saveexec_b32 s5, s3
	s_cbranch_execnz .LBB3_99
.LBB3_67:                               ;   in Loop: Header=BB3_26 Depth=1
	s_or_b32 exec_lo, exec_lo, s5
	s_and_saveexec_b32 s5, s4
	s_cbranch_execz .LBB3_69
.LBB3_68:                               ;   in Loop: Header=BB3_26 Depth=1
	v_add_co_u32 v59, vcc_lo, v15, s8
	v_cvt_f16_f32_e32 v55, v63
	v_add_co_ci_u32_e32 v60, vcc_lo, s9, v16, vcc_lo
	global_store_b16 v[59:60], v55, off
.LBB3_69:                               ;   in Loop: Header=BB3_26 Depth=1
	s_or_b32 exec_lo, exec_lo, s5
.LBB3_70:                               ;   in Loop: Header=BB3_26 Depth=1
	s_and_saveexec_b32 s5, s1
	s_cbranch_execnz .LBB3_85
; %bb.71:                               ;   in Loop: Header=BB3_26 Depth=1
	s_or_b32 exec_lo, exec_lo, s5
	s_and_saveexec_b32 s5, s2
	s_cbranch_execnz .LBB3_86
.LBB3_72:                               ;   in Loop: Header=BB3_26 Depth=1
	s_or_b32 exec_lo, exec_lo, s5
	s_and_saveexec_b32 s5, s3
	s_cbranch_execnz .LBB3_87
.LBB3_73:                               ;   in Loop: Header=BB3_26 Depth=1
	s_or_b32 exec_lo, exec_lo, s5
	s_and_saveexec_b32 s5, s4
	s_cbranch_execnz .LBB3_88
.LBB3_74:                               ;   in Loop: Header=BB3_26 Depth=1
	s_or_b32 exec_lo, exec_lo, s5
	s_and_saveexec_b32 s5, s1
	s_cbranch_execnz .LBB3_89
.LBB3_75:                               ;   in Loop: Header=BB3_26 Depth=1
	s_or_b32 exec_lo, exec_lo, s5
	s_and_saveexec_b32 s5, s2
	s_cbranch_execnz .LBB3_90
.LBB3_76:                               ;   in Loop: Header=BB3_26 Depth=1
	s_or_b32 exec_lo, exec_lo, s5
	s_and_saveexec_b32 s5, s3
	s_cbranch_execnz .LBB3_91
.LBB3_77:                               ;   in Loop: Header=BB3_26 Depth=1
	s_or_b32 exec_lo, exec_lo, s5
	s_and_saveexec_b32 s5, s4
	s_cbranch_execnz .LBB3_92
.LBB3_78:                               ;   in Loop: Header=BB3_26 Depth=1
	s_or_b32 exec_lo, exec_lo, s5
	s_and_saveexec_b32 s5, s1
	s_cbranch_execnz .LBB3_93
.LBB3_79:                               ;   in Loop: Header=BB3_26 Depth=1
	s_or_b32 exec_lo, exec_lo, s5
	s_and_saveexec_b32 s1, s2
	s_cbranch_execnz .LBB3_94
.LBB3_80:                               ;   in Loop: Header=BB3_26 Depth=1
	s_or_b32 exec_lo, exec_lo, s1
	s_and_saveexec_b32 s1, s3
	s_cbranch_execnz .LBB3_95
.LBB3_81:                               ;   in Loop: Header=BB3_26 Depth=1
	s_or_b32 exec_lo, exec_lo, s1
	s_and_saveexec_b32 s1, s4
	s_cbranch_execz .LBB3_25
	s_branch .LBB3_96
.LBB3_82:                               ;   in Loop: Header=BB3_26 Depth=1
	v_add_co_u32 v73, vcc_lo, v13, s8
	v_add_co_ci_u32_e32 v74, vcc_lo, s9, v14, vcc_lo
	v_add_co_u32 v75, vcc_lo, v15, s8
	v_add_co_ci_u32_e32 v76, vcc_lo, s9, v16, vcc_lo
	global_load_u16 v55, v[73:74], off
	global_load_u16 v63, v[75:76], off
	s_or_b32 exec_lo, exec_lo, s5
	v_mov_b32_e32 v65, 0
	s_and_saveexec_b32 s5, s4
	s_cbranch_execz .LBB3_46
.LBB3_83:                               ;   in Loop: Header=BB3_26 Depth=1
	v_add_co_u32 v73, vcc_lo, v17, s8
	v_add_co_ci_u32_e32 v74, vcc_lo, s9, v18, vcc_lo
	v_add_co_u32 v75, vcc_lo, v19, s8
	v_add_co_ci_u32_e32 v76, vcc_lo, s9, v20, vcc_lo
	global_load_u16 v61, v[73:74], off
	global_load_u16 v65, v[75:76], off
	s_or_b32 exec_lo, exec_lo, s5
	v_mov_b32_e32 v71, 0
	s_and_saveexec_b32 s5, s4
	s_cbranch_execz .LBB3_47
.LBB3_84:                               ;   in Loop: Header=BB3_26 Depth=1
	v_add_co_u32 v73, vcc_lo, v21, s8
	v_add_co_ci_u32_e32 v74, vcc_lo, s9, v22, vcc_lo
	global_load_u16 v71, v[73:74], off
	s_or_b32 exec_lo, exec_lo, s5
	s_waitcnt vmcnt(1)
	v_cvt_f32_f16_e32 v59, v59
	s_and_not1_b32 vcc_lo, exec_lo, s16
	s_cbranch_vccz .LBB3_48
	s_branch .LBB3_49
.LBB3_85:                               ;   in Loop: Header=BB3_26 Depth=1
	v_add_co_u32 v59, vcc_lo, v6, s8
	v_cvt_f16_f32_e32 v55, v66
	v_add_co_ci_u32_e32 v60, vcc_lo, s9, v7, vcc_lo
	global_store_b16 v[59:60], v55, off
	s_or_b32 exec_lo, exec_lo, s5
	s_and_saveexec_b32 s5, s2
	s_cbranch_execz .LBB3_72
.LBB3_86:                               ;   in Loop: Header=BB3_26 Depth=1
	v_add_co_u32 v59, vcc_lo, v47, s8
	v_cvt_f16_f32_e32 v55, v64
	v_add_co_ci_u32_e32 v60, vcc_lo, s9, v48, vcc_lo
	global_store_b16 v[59:60], v55, off
	s_or_b32 exec_lo, exec_lo, s5
	s_and_saveexec_b32 s5, s3
	s_cbranch_execz .LBB3_73
.LBB3_87:                               ;   in Loop: Header=BB3_26 Depth=1
	v_add_co_u32 v59, vcc_lo, v33, s8
	v_cvt_f16_f32_e32 v55, v68
	v_add_co_ci_u32_e32 v60, vcc_lo, s9, v34, vcc_lo
	global_store_b16 v[59:60], v55, off
	s_or_b32 exec_lo, exec_lo, s5
	s_and_saveexec_b32 s5, s4
	s_cbranch_execz .LBB3_74
.LBB3_88:                               ;   in Loop: Header=BB3_26 Depth=1
	v_add_co_u32 v59, vcc_lo, v17, s8
	v_cvt_f16_f32_e32 v55, v61
	v_add_co_ci_u32_e32 v60, vcc_lo, s9, v18, vcc_lo
	global_store_b16 v[59:60], v55, off
	s_or_b32 exec_lo, exec_lo, s5
	s_and_saveexec_b32 s5, s1
	s_cbranch_execz .LBB3_75
.LBB3_89:                               ;   in Loop: Header=BB3_26 Depth=1
	v_cvt_f16_f32_e32 v55, v58
	v_add_co_u32 v58, vcc_lo, v8, s8
	v_add_co_ci_u32_e32 v59, vcc_lo, s9, v9, vcc_lo
	global_store_b16 v[58:59], v55, off
	s_or_b32 exec_lo, exec_lo, s5
	s_and_saveexec_b32 s5, s2
	s_cbranch_execz .LBB3_76
.LBB3_90:                               ;   in Loop: Header=BB3_26 Depth=1
	v_add_co_u32 v58, vcc_lo, v49, s8
	v_cvt_f16_f32_e32 v55, v70
	v_add_co_ci_u32_e32 v59, vcc_lo, s9, v50, vcc_lo
	global_store_b16 v[58:59], v55, off
	s_or_b32 exec_lo, exec_lo, s5
	s_and_saveexec_b32 s5, s3
	s_cbranch_execz .LBB3_77
.LBB3_91:                               ;   in Loop: Header=BB3_26 Depth=1
	v_add_co_u32 v58, vcc_lo, v35, s8
	v_cvt_f16_f32_e32 v55, v67
	v_add_co_ci_u32_e32 v59, vcc_lo, s9, v36, vcc_lo
	global_store_b16 v[58:59], v55, off
	s_or_b32 exec_lo, exec_lo, s5
	s_and_saveexec_b32 s5, s4
	s_cbranch_execz .LBB3_78
.LBB3_92:                               ;   in Loop: Header=BB3_26 Depth=1
	v_add_co_u32 v58, vcc_lo, v19, s8
	v_cvt_f16_f32_e32 v55, v65
	v_add_co_ci_u32_e32 v59, vcc_lo, s9, v20, vcc_lo
	global_store_b16 v[58:59], v55, off
	s_or_b32 exec_lo, exec_lo, s5
	s_and_saveexec_b32 s5, s1
	s_cbranch_execz .LBB3_79
.LBB3_93:                               ;   in Loop: Header=BB3_26 Depth=1
	v_add_co_u32 v58, vcc_lo, v10, s8
	v_cvt_f16_f32_e32 v53, v53
	v_add_co_ci_u32_e32 v59, vcc_lo, s9, v11, vcc_lo
	global_store_b16 v[58:59], v53, off
	s_or_b32 exec_lo, exec_lo, s5
	s_and_saveexec_b32 s1, s2
	s_cbranch_execz .LBB3_80
.LBB3_94:                               ;   in Loop: Header=BB3_26 Depth=1
	v_cvt_f16_f32_e32 v53, v57
	v_add_co_u32 v57, vcc_lo, v51, s8
	v_add_co_ci_u32_e32 v58, vcc_lo, s9, v52, vcc_lo
	global_store_b16 v[57:58], v53, off
	s_or_b32 exec_lo, exec_lo, s1
	s_and_saveexec_b32 s1, s3
	s_cbranch_execz .LBB3_81
.LBB3_95:                               ;   in Loop: Header=BB3_26 Depth=1
	v_add_co_u32 v55, vcc_lo, v38, s8
	v_cvt_f16_f32_e32 v53, v56
	v_add_co_ci_u32_e32 v56, vcc_lo, s9, v39, vcc_lo
	global_store_b16 v[55:56], v53, off
	s_or_b32 exec_lo, exec_lo, s1
	s_and_saveexec_b32 s1, s4
	s_cbranch_execz .LBB3_25
.LBB3_96:                               ;   in Loop: Header=BB3_26 Depth=1
	v_add_co_u32 v53, vcc_lo, v21, s8
	v_cvt_f16_f32_e32 v55, v54
	v_add_co_ci_u32_e32 v54, vcc_lo, s9, v22, vcc_lo
	global_store_b16 v[53:54], v55, off
	s_branch .LBB3_25
.LBB3_97:                               ;   in Loop: Header=BB3_26 Depth=1
	v_add_co_u32 v71, vcc_lo, v4, s8
	v_cvt_f16_f32_e32 v55, v59
	v_add_co_ci_u32_e32 v72, vcc_lo, s9, v5, vcc_lo
	global_store_b16 v[71:72], v55, off
	s_or_b32 exec_lo, exec_lo, s5
	s_and_saveexec_b32 s5, s2
	s_cbranch_execz .LBB3_66
.LBB3_98:                               ;   in Loop: Header=BB3_26 Depth=1
	v_add_co_u32 v59, vcc_lo, v45, s8
	v_cvt_f16_f32_e32 v55, v60
	v_add_co_ci_u32_e32 v60, vcc_lo, s9, v46, vcc_lo
	global_store_b16 v[59:60], v55, off
	s_or_b32 exec_lo, exec_lo, s5
	s_and_saveexec_b32 s5, s3
	s_cbranch_execz .LBB3_67
.LBB3_99:                               ;   in Loop: Header=BB3_26 Depth=1
	v_add_co_u32 v59, vcc_lo, v31, s8
	v_cvt_f16_f32_e32 v55, v62
	v_add_co_ci_u32_e32 v60, vcc_lo, s9, v32, vcc_lo
	global_store_b16 v[59:60], v55, off
	s_or_b32 exec_lo, exec_lo, s5
	s_and_saveexec_b32 s5, s4
	s_cbranch_execnz .LBB3_68
	s_branch .LBB3_69
.LBB3_100:
	s_nop 0
	s_sendmsg sendmsg(MSG_DEALLOC_VGPRS)
	s_endpgm
	.section	.rodata,"a",@progbits
	.p2align	6, 0x0
	.amdhsa_kernel _ZN2at6native12_GLOBAL__N_125multi_tensor_apply_kernelINS1_32FusedOptimizerTensorListMetadataILi5EEENS1_20FusedAdamMathFunctorIN3c104HalfELi5ELNS0_9ADAM_MODEE1ELb1EEEJPKfdddddbSB_SB_EEEvT_T0_DpT1_
		.amdhsa_group_segment_fixed_size 0
		.amdhsa_private_segment_fixed_size 0
		.amdhsa_kernarg_size 3624
		.amdhsa_user_sgpr_count 15
		.amdhsa_user_sgpr_dispatch_ptr 0
		.amdhsa_user_sgpr_queue_ptr 0
		.amdhsa_user_sgpr_kernarg_segment_ptr 1
		.amdhsa_user_sgpr_dispatch_id 0
		.amdhsa_user_sgpr_private_segment_size 0
		.amdhsa_wavefront_size32 1
		.amdhsa_uses_dynamic_stack 0
		.amdhsa_enable_private_segment 0
		.amdhsa_system_sgpr_workgroup_id_x 1
		.amdhsa_system_sgpr_workgroup_id_y 0
		.amdhsa_system_sgpr_workgroup_id_z 0
		.amdhsa_system_sgpr_workgroup_info 0
		.amdhsa_system_vgpr_workitem_id 0
		.amdhsa_next_free_vgpr 80
		.amdhsa_next_free_sgpr 39
		.amdhsa_reserve_vcc 1
		.amdhsa_float_round_mode_32 0
		.amdhsa_float_round_mode_16_64 0
		.amdhsa_float_denorm_mode_32 3
		.amdhsa_float_denorm_mode_16_64 3
		.amdhsa_dx10_clamp 1
		.amdhsa_ieee_mode 1
		.amdhsa_fp16_overflow 0
		.amdhsa_workgroup_processor_mode 1
		.amdhsa_memory_ordered 1
		.amdhsa_forward_progress 0
		.amdhsa_shared_vgpr_count 0
		.amdhsa_exception_fp_ieee_invalid_op 0
		.amdhsa_exception_fp_denorm_src 0
		.amdhsa_exception_fp_ieee_div_zero 0
		.amdhsa_exception_fp_ieee_overflow 0
		.amdhsa_exception_fp_ieee_underflow 0
		.amdhsa_exception_fp_ieee_inexact 0
		.amdhsa_exception_int_div_zero 0
	.end_amdhsa_kernel
	.section	.text._ZN2at6native12_GLOBAL__N_125multi_tensor_apply_kernelINS1_32FusedOptimizerTensorListMetadataILi5EEENS1_20FusedAdamMathFunctorIN3c104HalfELi5ELNS0_9ADAM_MODEE1ELb1EEEJPKfdddddbSB_SB_EEEvT_T0_DpT1_,"axG",@progbits,_ZN2at6native12_GLOBAL__N_125multi_tensor_apply_kernelINS1_32FusedOptimizerTensorListMetadataILi5EEENS1_20FusedAdamMathFunctorIN3c104HalfELi5ELNS0_9ADAM_MODEE1ELb1EEEJPKfdddddbSB_SB_EEEvT_T0_DpT1_,comdat
.Lfunc_end3:
	.size	_ZN2at6native12_GLOBAL__N_125multi_tensor_apply_kernelINS1_32FusedOptimizerTensorListMetadataILi5EEENS1_20FusedAdamMathFunctorIN3c104HalfELi5ELNS0_9ADAM_MODEE1ELb1EEEJPKfdddddbSB_SB_EEEvT_T0_DpT1_, .Lfunc_end3-_ZN2at6native12_GLOBAL__N_125multi_tensor_apply_kernelINS1_32FusedOptimizerTensorListMetadataILi5EEENS1_20FusedAdamMathFunctorIN3c104HalfELi5ELNS0_9ADAM_MODEE1ELb1EEEJPKfdddddbSB_SB_EEEvT_T0_DpT1_
                                        ; -- End function
	.section	.AMDGPU.csdata,"",@progbits
; Kernel info:
; codeLenInByte = 10476
; NumSgprs: 41
; NumVgprs: 80
; ScratchSize: 0
; MemoryBound: 0
; FloatMode: 240
; IeeeMode: 1
; LDSByteSize: 0 bytes/workgroup (compile time only)
; SGPRBlocks: 5
; VGPRBlocks: 9
; NumSGPRsForWavesPerEU: 41
; NumVGPRsForWavesPerEU: 80
; Occupancy: 16
; WaveLimiterHint : 0
; COMPUTE_PGM_RSRC2:SCRATCH_EN: 0
; COMPUTE_PGM_RSRC2:USER_SGPR: 15
; COMPUTE_PGM_RSRC2:TRAP_HANDLER: 0
; COMPUTE_PGM_RSRC2:TGID_X_EN: 1
; COMPUTE_PGM_RSRC2:TGID_Y_EN: 0
; COMPUTE_PGM_RSRC2:TGID_Z_EN: 0
; COMPUTE_PGM_RSRC2:TIDIG_COMP_CNT: 0
	.section	.text._ZN2at6native12_GLOBAL__N_125multi_tensor_apply_kernelINS1_32FusedOptimizerTensorListMetadataILi5EEENS1_20FusedAdamMathFunctorIN3c108BFloat16ELi5ELNS0_9ADAM_MODEE1ELb1EEEJPKfdddddbSB_SB_EEEvT_T0_DpT1_,"axG",@progbits,_ZN2at6native12_GLOBAL__N_125multi_tensor_apply_kernelINS1_32FusedOptimizerTensorListMetadataILi5EEENS1_20FusedAdamMathFunctorIN3c108BFloat16ELi5ELNS0_9ADAM_MODEE1ELb1EEEJPKfdddddbSB_SB_EEEvT_T0_DpT1_,comdat
	.globl	_ZN2at6native12_GLOBAL__N_125multi_tensor_apply_kernelINS1_32FusedOptimizerTensorListMetadataILi5EEENS1_20FusedAdamMathFunctorIN3c108BFloat16ELi5ELNS0_9ADAM_MODEE1ELb1EEEJPKfdddddbSB_SB_EEEvT_T0_DpT1_ ; -- Begin function _ZN2at6native12_GLOBAL__N_125multi_tensor_apply_kernelINS1_32FusedOptimizerTensorListMetadataILi5EEENS1_20FusedAdamMathFunctorIN3c108BFloat16ELi5ELNS0_9ADAM_MODEE1ELb1EEEJPKfdddddbSB_SB_EEEvT_T0_DpT1_
	.p2align	8
	.type	_ZN2at6native12_GLOBAL__N_125multi_tensor_apply_kernelINS1_32FusedOptimizerTensorListMetadataILi5EEENS1_20FusedAdamMathFunctorIN3c108BFloat16ELi5ELNS0_9ADAM_MODEE1ELb1EEEJPKfdddddbSB_SB_EEEvT_T0_DpT1_,@function
_ZN2at6native12_GLOBAL__N_125multi_tensor_apply_kernelINS1_32FusedOptimizerTensorListMetadataILi5EEENS1_20FusedAdamMathFunctorIN3c108BFloat16ELi5ELNS0_9ADAM_MODEE1ELb1EEEJPKfdddddbSB_SB_EEEvT_T0_DpT1_: ; @_ZN2at6native12_GLOBAL__N_125multi_tensor_apply_kernelINS1_32FusedOptimizerTensorListMetadataILi5EEENS1_20FusedAdamMathFunctorIN3c108BFloat16ELi5ELNS0_9ADAM_MODEE1ELb1EEEJPKfdddddbSB_SB_EEEvT_T0_DpT1_
; %bb.0:
	v_mov_b32_e32 v1, s15
	s_add_u32 s3, s0, s15
	s_mul_hi_u32 s12, s15, 3
	s_mul_i32 s15, s15, 3
	s_addc_u32 s13, s1, 0
	global_load_u8 v1, v1, s[0:1] offset:1680
	s_clause 0x1
	s_load_b256 s[4:11], s[0:1], 0xce0
	s_load_b128 s[16:19], s[0:1], 0xd00
	s_add_u32 s20, s3, s15
	s_addc_u32 s21, s13, s12
	s_mov_b32 s3, 0
	s_waitcnt lgkmcnt(0)
	s_cmp_eq_u64 s[4:5], 0
	s_waitcnt vmcnt(0)
	v_readfirstlane_b32 s2, v1
	s_cbranch_scc1 .LBB4_28
; %bb.1:
	s_load_b32 s4, s[4:5], 0x0
	s_waitcnt lgkmcnt(0)
	v_mov_b32_e32 v29, s4
	s_and_not1_b32 vcc_lo, exec_lo, s3
	s_cbranch_vccnz .LBB4_3
.LBB4_2:
	v_cvt_f32_f64_e32 v29, s[6:7]
.LBB4_3:
	s_load_b128 s[12:15], s[0:1], 0xd18
	s_waitcnt lgkmcnt(0)
	s_cmp_eq_u64 s[14:15], 0
	s_cselect_b32 s3, -1, 0
	s_delay_alu instid0(SALU_CYCLE_1)
	s_and_b32 vcc_lo, exec_lo, s3
	s_cbranch_vccnz .LBB4_5
; %bb.4:
	s_load_b32 s3, s[14:15], 0x0
	s_waitcnt lgkmcnt(0)
	v_cmp_neq_f32_e64 s3, s3, 1.0
.LBB4_5:
	s_delay_alu instid0(VALU_DEP_1)
	s_and_not1_b32 vcc_lo, exec_lo, s3
	s_cbranch_vccnz .LBB4_117
; %bb.6:
	s_load_b32 s3, s[0:1], 0xd10
	v_cvt_f32_f64_e32 v25, s[10:11]
	v_cvt_f32_f64_e32 v26, s[8:9]
	s_mov_b32 s9, 0x3e76c4e1
	v_cvt_f32_f64_e32 v30, s[16:17]
	v_cvt_f32_f64_e32 v27, s[18:19]
	s_waitcnt lgkmcnt(0)
	s_bitcmp1_b32 s3, 0
	s_cselect_b32 s28, -1, 0
	s_and_b32 s2, s2, 0xff
	s_delay_alu instid0(SALU_CYCLE_1)
	s_lshl_b32 s7, s2, 3
	s_clause 0x1
	s_load_b64 s[2:3], s[0:1], s7 offset:0x5a0
	s_load_b64 s[10:11], s[0:1], s7 offset:0x4b0
	s_waitcnt lgkmcnt(0)
	s_load_b32 s8, s[2:3], 0x0
	s_delay_alu instid0(VALU_DEP_4) | instskip(NEXT) | instid1(VALU_DEP_4)
	v_cmp_eq_f32_e64 s3, 1.0, v25
	v_cmp_eq_f32_e64 s4, 1.0, v26
	s_clause 0x5
	s_load_b32 s24, s[20:21], 0x7d0
	s_load_b64 s[22:23], s[0:1], s7 offset:0x0
	s_load_b64 s[20:21], s[0:1], s7 offset:0xf0
	;; [unrolled: 1-line block ×5, first 2 shown]
	s_waitcnt lgkmcnt(0)
	v_cndmask_b32_e64 v5, s8, 1.0, s3
	v_cndmask_b32_e64 v7, s8, 1.0, s4
	s_ashr_i32 s25, s24, 31
	s_delay_alu instid0(VALU_DEP_2) | instskip(NEXT) | instid1(VALU_DEP_2)
	v_cmp_eq_f32_e32 vcc_lo, 0, v5
	v_cmp_eq_f32_e64 s2, 0, v7
	s_lshl_b64 s[26:27], s[24:25], 16
	v_cndmask_b32_e64 v6, |v25|, 1.0, vcc_lo
	s_delay_alu instid0(VALU_DEP_2) | instskip(SKIP_1) | instid1(VALU_DEP_3)
	v_cndmask_b32_e64 v8, |v26|, 1.0, s2
	v_cndmask_b32_e64 v28, v25, 1.0, vcc_lo
	v_frexp_mant_f32_e32 v1, v6
	s_delay_alu instid0(VALU_DEP_3) | instskip(NEXT) | instid1(VALU_DEP_2)
	v_frexp_mant_f32_e32 v3, v8
	v_cmp_gt_f32_e64 s5, 0x3f2aaaab, v1
	s_delay_alu instid0(VALU_DEP_2) | instskip(NEXT) | instid1(VALU_DEP_2)
	v_cmp_gt_f32_e64 s6, 0x3f2aaaab, v3
	v_cndmask_b32_e64 v2, 1.0, 2.0, s5
	s_delay_alu instid0(VALU_DEP_2) | instskip(NEXT) | instid1(VALU_DEP_1)
	v_cndmask_b32_e64 v9, 1.0, 2.0, s6
	v_mul_f32_e32 v3, v3, v9
	s_delay_alu instid0(VALU_DEP_3) | instskip(NEXT) | instid1(VALU_DEP_1)
	v_mul_f32_e32 v1, v1, v2
	v_dual_add_f32 v11, 1.0, v3 :: v_dual_add_f32 v10, -1.0, v1
	v_add_f32_e32 v2, 1.0, v1
	s_delay_alu instid0(VALU_DEP_2) | instskip(SKIP_1) | instid1(VALU_DEP_2)
	v_rcp_f32_e32 v14, v11
	v_add_f32_e32 v16, -1.0, v11
	v_rcp_f32_e32 v4, v2
	s_waitcnt_depctr 0xfff
	v_dual_mul_f32 v9, v10, v4 :: v_dual_add_f32 v12, -1.0, v2
	s_delay_alu instid0(VALU_DEP_1) | instskip(NEXT) | instid1(VALU_DEP_2)
	v_mul_f32_e32 v13, v2, v9
	v_dual_sub_f32 v1, v1, v12 :: v_dual_add_f32 v12, -1.0, v3
	s_delay_alu instid0(VALU_DEP_2) | instskip(NEXT) | instid1(VALU_DEP_1)
	v_fma_f32 v2, v9, v2, -v13
	v_dual_mul_f32 v15, v12, v14 :: v_dual_fmac_f32 v2, v9, v1
	v_sub_f32_e32 v3, v3, v16
	s_delay_alu instid0(VALU_DEP_2) | instskip(NEXT) | instid1(VALU_DEP_1)
	v_mul_f32_e32 v17, v11, v15
	v_fma_f32 v11, v15, v11, -v17
	s_delay_alu instid0(VALU_DEP_1) | instskip(NEXT) | instid1(VALU_DEP_1)
	v_fmac_f32_e32 v11, v15, v3
	v_add_f32_e32 v3, v17, v11
	v_add_f32_e32 v1, v13, v2
	s_delay_alu instid0(VALU_DEP_1) | instskip(NEXT) | instid1(VALU_DEP_1)
	v_sub_f32_e32 v18, v10, v1
	v_dual_sub_f32 v13, v1, v13 :: v_dual_sub_f32 v10, v10, v18
	s_delay_alu instid0(VALU_DEP_1) | instskip(NEXT) | instid1(VALU_DEP_1)
	v_dual_sub_f32 v2, v13, v2 :: v_dual_sub_f32 v1, v10, v1
	v_dual_add_f32 v1, v2, v1 :: v_dual_sub_f32 v2, v12, v3
	s_delay_alu instid0(VALU_DEP_1) | instskip(NEXT) | instid1(VALU_DEP_1)
	v_dual_add_f32 v1, v18, v1 :: v_dual_sub_f32 v12, v12, v2
	v_dual_sub_f32 v10, v3, v17 :: v_dual_sub_f32 v3, v12, v3
	s_delay_alu instid0(VALU_DEP_1) | instskip(NEXT) | instid1(VALU_DEP_1)
	v_dual_mul_f32 v1, v4, v1 :: v_dual_sub_f32 v4, v10, v11
	v_dual_add_f32 v10, v9, v1 :: v_dual_add_f32 v3, v4, v3
	s_delay_alu instid0(VALU_DEP_1) | instskip(SKIP_1) | instid1(VALU_DEP_2)
	v_sub_f32_e32 v4, v10, v9
	v_mul_f32_e32 v9, v10, v10
	v_sub_f32_e32 v11, v1, v4
	s_delay_alu instid0(VALU_DEP_2) | instskip(NEXT) | instid1(VALU_DEP_2)
	v_fma_f32 v12, v10, v10, -v9
	v_add_f32_e32 v4, v11, v11
	s_delay_alu instid0(VALU_DEP_1) | instskip(SKIP_1) | instid1(VALU_DEP_1)
	v_fmac_f32_e32 v12, v10, v4
	v_add_f32_e32 v2, v2, v3
	v_mul_f32_e32 v3, v14, v2
	v_cvt_f64_f32_e32 v[1:2], v6
	s_delay_alu instid0(VALU_DEP_2) | instskip(NEXT) | instid1(VALU_DEP_1)
	v_add_f32_e32 v13, v15, v3
	v_sub_f32_e32 v4, v13, v15
	s_delay_alu instid0(VALU_DEP_1) | instskip(NEXT) | instid1(VALU_DEP_1)
	v_dual_mul_f32 v15, v13, v13 :: v_dual_sub_f32 v16, v3, v4
	v_fma_f32 v17, v13, v13, -v15
	v_add_f32_e32 v14, v9, v12
	s_delay_alu instid0(VALU_DEP_1) | instskip(SKIP_1) | instid1(VALU_DEP_2)
	v_dual_add_f32 v18, v16, v16 :: v_dual_sub_f32 v9, v14, v9
	v_mul_f32_e32 v23, v10, v14
	v_fmac_f32_e32 v17, v13, v18
	v_fmaak_f32 v3, s9, v14, 0x3e91f4c4
	s_delay_alu instid0(VALU_DEP_4) | instskip(NEXT) | instid1(VALU_DEP_4)
	v_sub_f32_e32 v9, v12, v9
	v_fma_f32 v24, v14, v10, -v23
	s_delay_alu instid0(VALU_DEP_4) | instskip(SKIP_1) | instid1(VALU_DEP_2)
	v_add_f32_e32 v20, v15, v17
	v_frexp_exp_i32_f64_e32 v1, v[1:2]
	v_sub_f32_e32 v2, v20, v15
	v_fmaak_f32 v19, v14, v3, 0x3ecccdef
	v_cvt_f64_f32_e32 v[3:4], v8
	s_delay_alu instid0(VALU_DEP_3) | instskip(NEXT) | instid1(VALU_DEP_3)
	v_sub_f32_e32 v2, v17, v2
	v_mul_f32_e32 v18, v14, v19
	s_delay_alu instid0(VALU_DEP_1) | instskip(NEXT) | instid1(VALU_DEP_1)
	v_fma_f32 v12, v14, v19, -v18
	v_dual_fmaak_f32 v21, s9, v20, 0x3e91f4c4 :: v_dual_fmac_f32 v12, v9, v19
	s_delay_alu instid0(VALU_DEP_1) | instskip(NEXT) | instid1(VALU_DEP_2)
	v_fmaak_f32 v19, v20, v21, 0x3ecccdef
	v_add_f32_e32 v21, v18, v12
	s_delay_alu instid0(VALU_DEP_1) | instskip(SKIP_1) | instid1(VALU_DEP_2)
	v_sub_f32_e32 v18, v21, v18
	v_add_f32_e32 v22, 0x3f2aaaaa, v21
	v_sub_f32_e32 v12, v12, v18
	s_delay_alu instid0(VALU_DEP_2) | instskip(NEXT) | instid1(VALU_DEP_2)
	v_add_f32_e32 v18, 0xbf2aaaaa, v22
	v_add_f32_e32 v12, 0x31739010, v12
	s_delay_alu instid0(VALU_DEP_2) | instskip(SKIP_2) | instid1(VALU_DEP_3)
	v_dual_sub_f32 v18, v21, v18 :: v_dual_mul_f32 v15, v20, v19
	v_subrev_co_ci_u32_e64 v1, s5, 0, v1, s5
	v_frexp_exp_i32_f64_e32 v3, v[3:4]
	v_add_f32_e32 v4, v12, v18
	s_delay_alu instid0(VALU_DEP_4) | instskip(NEXT) | instid1(VALU_DEP_4)
	v_fma_f32 v17, v20, v19, -v15
	v_cvt_f32_i32_e32 v1, v1
	s_delay_alu instid0(VALU_DEP_2) | instskip(SKIP_3) | instid1(VALU_DEP_3)
	v_fmac_f32_e32 v17, v2, v19
	v_fmac_f32_e32 v24, v14, v11
	v_mul_f32_e32 v14, v13, v20
	v_ldexp_f32 v11, v11, 1
	v_dual_add_f32 v19, v15, v17 :: v_dual_fmac_f32 v24, v9, v10
	s_delay_alu instid0(VALU_DEP_3) | instskip(NEXT) | instid1(VALU_DEP_2)
	v_fma_f32 v9, v20, v13, -v14
	v_sub_f32_e32 v12, v19, v15
	v_add_f32_e32 v15, 0x3f2aaaaa, v19
	s_delay_alu instid0(VALU_DEP_3) | instskip(SKIP_2) | instid1(VALU_DEP_4)
	v_fmac_f32_e32 v9, v20, v16
	v_add_f32_e32 v18, v22, v4
	v_ldexp_f32 v16, v16, 1
	v_dual_sub_f32 v12, v17, v12 :: v_dual_add_f32 v17, 0xbf2aaaaa, v15
	s_delay_alu instid0(VALU_DEP_3) | instskip(SKIP_1) | instid1(VALU_DEP_2)
	v_dual_add_f32 v21, v23, v24 :: v_dual_sub_f32 v20, v22, v18
	v_fmac_f32_e32 v9, v2, v13
	v_dual_sub_f32 v17, v19, v17 :: v_dual_mul_f32 v22, v21, v18
	s_delay_alu instid0(VALU_DEP_4) | instskip(NEXT) | instid1(VALU_DEP_4)
	v_dual_sub_f32 v23, v21, v23 :: v_dual_add_f32 v12, 0x31739010, v12
	v_add_f32_e32 v4, v4, v20
	v_mul_f32_e32 v20, 0x3f317218, v1
	s_delay_alu instid0(VALU_DEP_4) | instskip(NEXT) | instid1(VALU_DEP_4)
	v_fma_f32 v19, v21, v18, -v22
	v_add_f32_e32 v12, v12, v17
	v_dual_add_f32 v17, v14, v9 :: v_dual_sub_f32 v2, v24, v23
	s_delay_alu instid0(VALU_DEP_3) | instskip(SKIP_1) | instid1(VALU_DEP_3)
	v_fmac_f32_e32 v19, v21, v4
	v_subrev_co_ci_u32_e64 v3, s5, 0, v3, s6
	v_sub_f32_e32 v14, v17, v14
	v_cmp_gt_f32_e64 s6, 0, v5
	s_delay_alu instid0(VALU_DEP_4)
	v_fmac_f32_e32 v19, v2, v18
	v_ldexp_f32 v2, v10, 1
	v_cvt_f32_i32_e32 v3, v3
	v_sub_f32_e32 v9, v9, v14
	v_fma_f32 v14, 0x3f317218, v1, -v20
	v_add_f32_e32 v18, v22, v19
	s_delay_alu instid0(VALU_DEP_1) | instskip(NEXT) | instid1(VALU_DEP_1)
	v_dual_add_f32 v4, v15, v12 :: v_dual_add_f32 v21, v2, v18
	v_sub_f32_e32 v10, v15, v4
	v_mul_f32_e32 v15, v17, v4
	s_delay_alu instid0(VALU_DEP_3) | instskip(NEXT) | instid1(VALU_DEP_3)
	v_sub_f32_e32 v2, v21, v2
	v_add_f32_e32 v10, v12, v10
	s_delay_alu instid0(VALU_DEP_3) | instskip(NEXT) | instid1(VALU_DEP_3)
	v_fma_f32 v12, v17, v4, -v15
	v_sub_f32_e32 v2, v18, v2
	s_delay_alu instid0(VALU_DEP_2) | instskip(NEXT) | instid1(VALU_DEP_1)
	v_fmac_f32_e32 v12, v17, v10
	v_fmac_f32_e32 v12, v9, v4
	v_ldexp_f32 v9, v13, 1
	v_sub_f32_e32 v22, v18, v22
	v_fmac_f32_e32 v14, 0xb102e308, v1
	s_delay_alu instid0(VALU_DEP_2) | instskip(SKIP_1) | instid1(VALU_DEP_2)
	v_sub_f32_e32 v10, v19, v22
	v_cndmask_b32_e64 v22, v26, 1.0, s2
	v_add_f32_e32 v4, v11, v10
	s_delay_alu instid0(VALU_DEP_1) | instskip(SKIP_1) | instid1(VALU_DEP_2)
	v_add_f32_e32 v1, v4, v2
	v_add_f32_e32 v4, v20, v14
	;; [unrolled: 1-line block ×3, first 2 shown]
	s_delay_alu instid0(VALU_DEP_1) | instskip(NEXT) | instid1(VALU_DEP_1)
	v_add_f32_e32 v17, v4, v10
	v_sub_f32_e32 v19, v17, v4
	v_add_f32_e32 v2, v15, v12
	s_delay_alu instid0(VALU_DEP_1) | instskip(SKIP_2) | instid1(VALU_DEP_3)
	v_add_f32_e32 v11, v9, v2
	v_sub_f32_e32 v13, v2, v15
	v_mul_f32_e32 v15, 0x3f317218, v3
	v_sub_f32_e32 v9, v11, v9
	s_delay_alu instid0(VALU_DEP_3) | instskip(NEXT) | instid1(VALU_DEP_3)
	v_sub_f32_e32 v12, v12, v13
	v_fma_f32 v13, 0x3f317218, v3, -v15
	s_delay_alu instid0(VALU_DEP_2) | instskip(NEXT) | instid1(VALU_DEP_2)
	v_dual_sub_f32 v2, v2, v9 :: v_dual_add_f32 v9, v16, v12
	v_fmac_f32_e32 v13, 0xb102e308, v3
	v_sub_f32_e32 v3, v17, v19
	s_delay_alu instid0(VALU_DEP_1) | instskip(SKIP_1) | instid1(VALU_DEP_1)
	v_dual_add_f32 v2, v9, v2 :: v_dual_sub_f32 v3, v4, v3
	v_sub_f32_e32 v9, v10, v19
	v_dual_add_f32 v3, v9, v3 :: v_dual_sub_f32 v18, v4, v20
	v_add_f32_e32 v4, v15, v13
	v_sub_f32_e32 v12, v10, v21
	v_add_f32_e32 v10, v11, v2
	v_mul_f32_e32 v20, 0.5, v5
	v_sub_f32_e32 v14, v14, v18
	s_delay_alu instid0(VALU_DEP_3) | instskip(NEXT) | instid1(VALU_DEP_1)
	v_add_f32_e32 v9, v4, v10
	v_sub_f32_e32 v18, v9, v4
	s_delay_alu instid0(VALU_DEP_1) | instskip(SKIP_2) | instid1(VALU_DEP_1)
	v_sub_f32_e32 v19, v9, v18
	v_sub_f32_e32 v15, v4, v15
	;; [unrolled: 1-line block ×3, first 2 shown]
	v_dual_sub_f32 v13, v13, v15 :: v_dual_add_f32 v12, v14, v1
	s_delay_alu instid0(VALU_DEP_1) | instskip(NEXT) | instid1(VALU_DEP_1)
	v_add_f32_e32 v3, v12, v3
	v_dual_sub_f32 v16, v12, v14 :: v_dual_add_f32 v15, v17, v3
	s_delay_alu instid0(VALU_DEP_1) | instskip(SKIP_1) | instid1(VALU_DEP_1)
	v_sub_f32_e32 v1, v1, v16
	v_sub_f32_e32 v11, v10, v11
	;; [unrolled: 1-line block ×3, first 2 shown]
	s_delay_alu instid0(VALU_DEP_1) | instskip(NEXT) | instid1(VALU_DEP_1)
	v_dual_sub_f32 v12, v12, v16 :: v_dual_add_f32 v11, v13, v2
	v_sub_f32_e32 v12, v14, v12
	s_delay_alu instid0(VALU_DEP_1) | instskip(NEXT) | instid1(VALU_DEP_1)
	v_dual_sub_f32 v14, v15, v17 :: v_dual_add_f32 v1, v1, v12
	v_sub_f32_e32 v3, v3, v14
	s_delay_alu instid0(VALU_DEP_1) | instskip(SKIP_2) | instid1(VALU_DEP_1)
	v_add_f32_e32 v1, v1, v3
	v_dual_sub_f32 v4, v4, v19 :: v_dual_sub_f32 v3, v11, v13
	v_sub_f32_e32 v10, v10, v18
	v_add_f32_e32 v4, v10, v4
	s_delay_alu instid0(VALU_DEP_4) | instskip(NEXT) | instid1(VALU_DEP_2)
	v_add_f32_e32 v10, v15, v1
	v_add_f32_e32 v4, v11, v4
	v_sub_f32_e32 v11, v11, v3
	s_delay_alu instid0(VALU_DEP_3) | instskip(NEXT) | instid1(VALU_DEP_3)
	v_dual_sub_f32 v14, v10, v15 :: v_dual_mul_f32 v15, v5, v10
	v_add_f32_e32 v12, v9, v4
	s_delay_alu instid0(VALU_DEP_2) | instskip(NEXT) | instid1(VALU_DEP_3)
	v_sub_f32_e32 v1, v1, v14
	v_fma_f32 v10, v5, v10, -v15
	v_cmp_class_f32_e64 s5, v15, 0x204
	s_delay_alu instid0(VALU_DEP_4) | instskip(SKIP_2) | instid1(VALU_DEP_2)
	v_dual_sub_f32 v9, v12, v9 :: v_dual_sub_f32 v2, v2, v3
	v_sub_f32_e32 v3, v13, v11
	v_trunc_f32_e32 v13, v7
	v_dual_add_f32 v2, v2, v3 :: v_dual_sub_f32 v3, v4, v9
	v_cndmask_b32_e64 v9, |s8|, 1.0, s3
	s_delay_alu instid0(VALU_DEP_3) | instskip(SKIP_4) | instid1(VALU_DEP_2)
	v_cmp_eq_f32_e64 s2, v13, v7
	v_cndmask_b32_e64 v4, |s8|, 1.0, s4
	v_cmp_eq_f32_e64 s8, 0x7f800000, v6
	v_add_f32_e32 v2, v2, v3
	v_cmp_gt_f32_e64 s4, 0, v7
	v_dual_add_f32 v11, v12, v2 :: v_dual_fmac_f32 v10, v5, v1
	s_delay_alu instid0(VALU_DEP_1) | instskip(NEXT) | instid1(VALU_DEP_2)
	v_mul_f32_e32 v17, v7, v11
	v_add_f32_e32 v1, v15, v10
	v_sub_f32_e32 v12, v11, v12
	s_delay_alu instid0(VALU_DEP_3) | instskip(NEXT) | instid1(VALU_DEP_3)
	v_fma_f32 v11, v7, v11, -v17
	v_cndmask_b32_e64 v3, v1, v15, s5
	s_delay_alu instid0(VALU_DEP_3)
	v_sub_f32_e32 v2, v2, v12
	v_mul_f32_e32 v16, 0.5, v7
	v_sub_f32_e32 v1, v1, v15
	v_cmp_class_f32_e64 s7, v17, 0x204
	v_cmp_eq_f32_e64 s3, 0x42b17218, v3
	v_fmac_f32_e32 v11, v7, v2
	v_trunc_f32_e32 v12, v5
	v_cmp_neq_f32_e64 s5, v5, v9
	v_sub_f32_e32 v1, v10, v1
	v_cndmask_b32_e64 v14, 0, 0x37000000, s3
	v_add_f32_e32 v23, v17, v11
	v_cmp_eq_f32_e32 vcc_lo, v12, v5
	v_cmp_neq_f32_e64 s3, v7, v4
	v_trunc_f32_e32 v24, v16
	v_sub_f32_e32 v18, v3, v14
	s_delay_alu instid0(VALU_DEP_1) | instskip(NEXT) | instid1(VALU_DEP_1)
	v_mul_f32_e32 v19, 0x3fb8aa3b, v18
	v_rndne_f32_e32 v21, v19
	v_fma_f32 v2, 0x3fb8aa3b, v18, -v19
	s_delay_alu instid0(VALU_DEP_2) | instskip(SKIP_1) | instid1(VALU_DEP_3)
	v_sub_f32_e32 v13, v19, v21
	v_cndmask_b32_e64 v19, v23, v17, s7
	v_dual_fmac_f32 v2, 0x32a5705f, v18 :: v_dual_sub_f32 v17, v23, v17
	s_delay_alu instid0(VALU_DEP_2) | instskip(NEXT) | instid1(VALU_DEP_2)
	v_cmp_eq_f32_e64 s7, 0x42b17218, v19
	v_add_f32_e32 v2, v13, v2
	v_trunc_f32_e32 v13, v20
	s_delay_alu instid0(VALU_DEP_4) | instskip(NEXT) | instid1(VALU_DEP_4)
	v_sub_f32_e32 v11, v11, v17
	v_cndmask_b32_e64 v12, 0, 0x37000000, s7
	v_cmp_gt_f32_e64 s7, 1.0, v6
	s_delay_alu instid0(VALU_DEP_4) | instskip(SKIP_1) | instid1(VALU_DEP_4)
	v_cmp_neq_f32_e64 s9, v13, v20
	v_cvt_i32_f32_e32 v13, v21
	v_sub_f32_e32 v15, v19, v12
	s_delay_alu instid0(VALU_DEP_4) | instskip(NEXT) | instid1(VALU_DEP_3)
	s_xor_b32 s5, s5, s7
	s_and_b32 s7, vcc_lo, s9
	v_cndmask_b32_e64 v20, v9, 0, s5
	v_cmp_neq_f32_e64 s5, 0x7f800000, |v3|
	v_mul_f32_e32 v10, 0x3fb8aa3b, v15
	s_delay_alu instid0(VALU_DEP_2) | instskip(SKIP_1) | instid1(VALU_DEP_3)
	v_cndmask_b32_e64 v1, 0, v1, s5
	v_cmp_ngt_f32_e64 s5, 0xc2ce8ed0, v18
	v_fma_f32 v3, 0x3fb8aa3b, v15, -v10
	s_delay_alu instid0(VALU_DEP_3) | instskip(SKIP_1) | instid1(VALU_DEP_2)
	v_add_f32_e32 v1, v14, v1
	v_exp_f32_e32 v2, v2
	v_fmac_f32_e32 v3, 0x32a5705f, v15
	v_cndmask_b32_e64 v14, 1.0, v28, s7
	s_waitcnt_depctr 0xfff
	v_ldexp_f32 v2, v2, v13
	v_rndne_f32_e32 v13, v10
	s_delay_alu instid0(VALU_DEP_2) | instskip(SKIP_1) | instid1(VALU_DEP_3)
	v_cndmask_b32_e64 v2, 0, v2, s5
	v_cmp_nlt_f32_e64 s5, 0x42b17218, v18
	v_sub_f32_e32 v10, v10, v13
	v_cvt_i32_f32_e32 v13, v13
	s_delay_alu instid0(VALU_DEP_3) | instskip(SKIP_1) | instid1(VALU_DEP_4)
	v_cndmask_b32_e64 v2, 0x7f800000, v2, s5
	v_cmp_eq_f32_e64 s5, 0, v28
	v_add_f32_e32 v3, v10, v3
	s_delay_alu instid0(VALU_DEP_3) | instskip(NEXT) | instid1(VALU_DEP_3)
	v_fma_f32 v1, v2, v1, v2
	s_xor_b32 s6, s6, s5
	s_or_b32 s5, s8, s5
	v_cndmask_b32_e64 v10, 0x7f800000, 0, s6
	v_cmp_class_f32_e64 s6, v2, 0x204
	s_delay_alu instid0(VALU_DEP_1) | instskip(SKIP_3) | instid1(VALU_DEP_3)
	v_cndmask_b32_e64 v1, v1, v2, s6
	v_exp_f32_e32 v2, v3
	v_cndmask_b32_e64 v3, 0, v28, s7
	v_cmp_eq_f32_e64 s6, 1.0, v6
	v_bfi_b32 v1, 0x7fffffff, v1, v14
	s_delay_alu instid0(VALU_DEP_3) | instskip(NEXT) | instid1(VALU_DEP_3)
	v_bfi_b32 v3, 0x7fffffff, v10, v3
	v_cndmask_b32_e64 v6, v20, v6, s6
	s_delay_alu instid0(VALU_DEP_3) | instskip(SKIP_1) | instid1(TRANS32_DEP_1)
	v_cndmask_b32_e32 v10, 0x7fc00000, v1, vcc_lo
	v_cmp_neq_f32_e64 vcc_lo, 0x7f800000, |v19|
	v_ldexp_f32 v2, v2, v13
	v_cndmask_b32_e32 v11, 0, v11, vcc_lo
	v_cmp_gt_f32_e32 vcc_lo, 0, v28
	s_delay_alu instid0(VALU_DEP_2) | instskip(SKIP_3) | instid1(VALU_DEP_4)
	v_dual_cndmask_b32 v1, v1, v10 :: v_dual_add_f32 v10, v12, v11
	v_cmp_ngt_f32_e32 vcc_lo, 0xc2ce8ed0, v15
	v_cndmask_b32_e32 v2, 0, v2, vcc_lo
	v_cmp_eq_f32_e32 vcc_lo, 0x7f800000, v9
	v_cndmask_b32_e32 v1, v1, v6, vcc_lo
	v_cmp_nlt_f32_e32 vcc_lo, 0x42b17218, v15
	s_delay_alu instid0(VALU_DEP_2) | instskip(SKIP_1) | instid1(VALU_DEP_2)
	v_cndmask_b32_e64 v1, v1, v3, s5
	v_cmp_gt_f32_e64 s5, 1.0, v8
	v_dual_sub_f32 v1, 1.0, v1 :: v_dual_cndmask_b32 v2, 0x7f800000, v2
	v_cmp_neq_f32_e32 vcc_lo, v24, v16
	s_delay_alu instid0(VALU_DEP_3) | instskip(SKIP_1) | instid1(VALU_DEP_3)
	s_xor_b32 s3, s3, s5
	v_cmp_eq_f32_e64 s5, 1.0, v8
	v_fma_f32 v3, v2, v10, v2
	v_cmp_class_f32_e64 s6, v2, 0x204
	s_and_b32 vcc_lo, s2, vcc_lo
	s_delay_alu instid0(VALU_DEP_1) | instskip(SKIP_2) | instid1(VALU_DEP_2)
	v_cndmask_b32_e64 v2, v3, v2, s6
	v_cndmask_b32_e64 v3, v4, 0, s3
	v_cmp_o_f32_e64 s3, v28, v5
	v_cndmask_b32_e64 v3, v3, v8, s5
	s_delay_alu instid0(VALU_DEP_2) | instskip(SKIP_3) | instid1(VALU_DEP_3)
	v_cndmask_b32_e64 v1, 0x7fc00000, v1, s3
	v_cndmask_b32_e32 v6, 1.0, v22, vcc_lo
	v_cmp_eq_f32_e64 s3, 0, v22
	s_mov_b32 s5, 0
	v_mul_f32_e32 v5, 0x4f800000, v1
	s_delay_alu instid0(VALU_DEP_3) | instskip(NEXT) | instid1(VALU_DEP_3)
	v_bfi_b32 v2, 0x7fffffff, v2, v6
	s_xor_b32 s4, s4, s3
	s_delay_alu instid0(SALU_CYCLE_1) | instskip(SKIP_1) | instid1(VALU_DEP_3)
	v_cndmask_b32_e64 v6, 0x7f800000, 0, s4
	v_cmp_eq_f32_e64 s4, 0x7f800000, v4
	v_cndmask_b32_e64 v9, 0x7fc00000, v2, s2
	v_cmp_gt_f32_e64 s2, 0xf800000, v1
	s_delay_alu instid0(VALU_DEP_1)
	v_cndmask_b32_e64 v1, v1, v5, s2
	v_cndmask_b32_e32 v5, 0, v22, vcc_lo
	v_cmp_gt_f32_e32 vcc_lo, 0, v22
	v_cndmask_b32_e32 v2, v2, v9, vcc_lo
	v_cmp_eq_f32_e32 vcc_lo, 0x7f800000, v8
	v_sqrt_f32_e32 v8, v1
	s_delay_alu instid0(VALU_DEP_2)
	v_cndmask_b32_e64 v2, v2, v3, s4
	s_or_b32 vcc_lo, vcc_lo, s3
	s_sub_u32 s6, s10, s26
	s_subb_u32 s7, s11, s27
	s_or_b32 s3, s14, s16
	s_lshl_b64 s[8:9], s[24:25], 17
	s_or_b32 s3, s3, s18
	s_waitcnt_depctr 0xfff
	v_add_nc_u32_e32 v4, 1, v8
	v_add_nc_u32_e32 v3, -1, v8
	v_bfi_b32 v5, 0x7fffffff, v6, v5
	s_or_b32 s3, s3, s20
	s_and_b32 s4, s22, 7
	s_and_b32 s3, s3, 7
	v_fma_f32 v6, -v3, v8, v1
	s_cmp_lg_u32 s3, 0
	v_fma_f32 v9, -v4, v8, v1
	s_cselect_b32 s11, -1, 0
	v_cndmask_b32_e32 v2, v2, v5, vcc_lo
	v_cmp_ge_f32_e64 s3, 0, v6
	v_cmp_o_f32_e32 vcc_lo, v22, v7
	s_delay_alu instid0(VALU_DEP_3) | instskip(NEXT) | instid1(VALU_DEP_3)
	v_sub_f32_e32 v2, 1.0, v2
	v_cndmask_b32_e64 v3, v8, v3, s3
	s_and_b32 s3, s10, 3
	s_delay_alu instid0(SALU_CYCLE_1) | instskip(SKIP_4) | instid1(VALU_DEP_3)
	s_or_b32 s4, s4, s3
	v_cmp_lt_f32_e64 s3, 0, v9
	v_cndmask_b32_e32 v31, 0x7fc00000, v2, vcc_lo
	v_cmp_class_f32_e64 vcc_lo, v1, 0x260
	s_cmp_lg_u64 s[4:5], 0
	v_cndmask_b32_e64 v3, v3, v4, s3
	s_cselect_b32 s3, -1, 0
	s_delay_alu instid0(SALU_CYCLE_1) | instskip(NEXT) | instid1(VALU_DEP_1)
	s_or_b32 s3, s11, s3
	v_mul_f32_e32 v4, 0x37800000, v3
	s_delay_alu instid0(VALU_DEP_1) | instskip(SKIP_1) | instid1(VALU_DEP_1)
	v_cndmask_b32_e64 v3, v3, v4, s2
	s_mov_b32 s2, -1
	v_cndmask_b32_e32 v28, v3, v1, vcc_lo
	s_and_not1_b32 vcc_lo, exec_lo, s3
	s_cbranch_vccz .LBB4_30
; %bb.7:
	v_dual_mov_b32 v2, 0 :: v_dual_lshlrev_b32 v1, 2, v0
	s_mov_b32 s10, exec_lo
	s_delay_alu instid0(VALU_DEP_1)
	v_cmpx_gt_i64_e64 s[6:7], v[1:2]
	s_cbranch_execz .LBB4_29
; %bb.8:
	v_div_scale_f32 v1, null, v31, v31, v29
	v_div_scale_f32 v5, vcc_lo, v29, v31, v29
	s_load_b32 s3, s[0:1], 0xd34
	s_delay_alu instid0(VALU_DEP_2)
	v_rcp_f32_e32 v3, v1
	s_cmp_lg_u64 s[12:13], 0
	v_cmp_neq_f32_e64 s2, 0, v30
	s_cselect_b32 s11, -1, 0
	s_mov_b32 s24, 0
	v_mul_f32_e32 v32, v29, v30
	s_waitcnt_depctr 0xfff
	v_fma_f32 v4, -v1, v3, 1.0
	s_delay_alu instid0(VALU_DEP_1) | instskip(SKIP_2) | instid1(VALU_DEP_1)
	v_fmac_f32_e32 v3, v4, v3
	s_waitcnt lgkmcnt(0)
	s_and_b32 s3, s3, 0xffff
	v_mul_f32_e32 v4, v5, v3
	s_lshl_b32 s25, s3, 3
	s_lshl_b32 s26, s3, 2
	s_delay_alu instid0(VALU_DEP_1) | instskip(NEXT) | instid1(VALU_DEP_1)
	v_fma_f32 v6, -v1, v4, v5
	v_fmac_f32_e32 v4, v6, v3
	v_lshlrev_b32_e32 v6, 3, v0
	s_delay_alu instid0(VALU_DEP_2) | instskip(SKIP_1) | instid1(VALU_DEP_3)
	v_fma_f32 v5, -v1, v4, v5
	v_add_lshl_u32 v1, v0, s3, 2
	v_add_co_u32 v33, s4, s8, v6
	s_delay_alu instid0(VALU_DEP_1) | instskip(NEXT) | instid1(VALU_DEP_4)
	v_add_co_ci_u32_e64 v34, null, s9, 0, s4
	v_div_fmas_f32 v3, v5, v3, v4
	s_delay_alu instid0(VALU_DEP_1)
	v_div_fixup_f32 v35, v3, v31, v29
	v_dual_mov_b32 v4, v2 :: v_dual_mov_b32 v3, v1
	s_branch .LBB4_10
.LBB4_9:                                ;   in Loop: Header=BB4_10 Depth=1
	v_bfe_u32 v11, v39, 16, 1
	v_bfe_u32 v12, v36, 16, 1
	;; [unrolled: 1-line block ×3, first 2 shown]
	v_cmp_o_f32_e32 vcc_lo, v39, v39
	v_bfe_u32 v14, v40, 16, 1
	v_add3_u32 v11, v39, v11, 0x7fff
	v_add3_u32 v12, v36, v12, 0x7fff
	;; [unrolled: 1-line block ×3, first 2 shown]
	v_bfe_u32 v15, v37, 16, 1
	v_bfe_u32 v16, v38, 16, 1
	v_lshrrev_b32_e32 v11, 16, v11
	v_lshrrev_b32_e32 v12, 16, v12
	v_add3_u32 v14, v40, v14, 0x7fff
	v_lshrrev_b32_e32 v13, 16, v13
	v_add3_u32 v15, v37, v15, 0x7fff
	v_cndmask_b32_e32 v11, 0x7fc0, v11, vcc_lo
	v_cmp_o_f32_e32 vcc_lo, v36, v36
	v_and_b32_e32 v14, 0xffff0000, v14
	v_add3_u32 v16, v38, v16, 0x7fff
	v_bfe_u32 v17, v21, 16, 1
	v_bfe_u32 v18, v24, 16, 1
	v_cndmask_b32_e32 v12, 0x7fc0, v12, vcc_lo
	v_cmp_o_f32_e32 vcc_lo, v1, v1
	v_cmp_lt_u64_e64 s3, 0xffff, v[3:4]
	s_delay_alu instid0(VALU_DEP_4)
	v_add3_u32 v18, v24, v18, 0x7fff
	v_cndmask_b32_e32 v1, 0x7fc0, v13, vcc_lo
	v_cmp_o_f32_e32 vcc_lo, v40, v40
	v_and_b32_e32 v13, 0xffff0000, v15
	v_and_b32_e32 v15, 0xffff0000, v16
	v_bfe_u32 v16, v19, 16, 1
	v_and_b32_e32 v18, 0xffff0000, v18
	v_cndmask_b32_e32 v14, 0x7fc00000, v14, vcc_lo
	v_cmp_o_f32_e32 vcc_lo, v37, v37
	s_delay_alu instid0(VALU_DEP_4) | instskip(NEXT) | instid1(VALU_DEP_3)
	v_add3_u32 v16, v19, v16, 0x7fff
	v_or_b32_e32 v11, v14, v11
	v_cndmask_b32_e32 v13, 0x7fc00000, v13, vcc_lo
	v_cmp_o_f32_e32 vcc_lo, v38, v38
	v_add3_u32 v14, v21, v17, 0x7fff
	v_bfe_u32 v17, v22, 16, 1
	v_or3_b32 v11, v11, 0, 0
	v_or_b32_e32 v13, v13, v12
	v_cndmask_b32_e32 v15, 0x7fc00000, v15, vcc_lo
	v_lshrrev_b32_e32 v12, 16, v16
	v_bfe_u32 v16, v20, 16, 1
	v_cmp_o_f32_e32 vcc_lo, v19, v19
	v_lshrrev_b32_e32 v14, 16, v14
	v_or_b32_e32 v1, v15, v1
	v_bfe_u32 v15, v23, 16, 1
	v_add3_u32 v16, v20, v16, 0x7fff
	v_cndmask_b32_e32 v12, 0x7fc0, v12, vcc_lo
	v_cmp_o_f32_e32 vcc_lo, v21, v21
	v_add3_u32 v17, v22, v17, 0x7fff
	v_add3_u32 v15, v23, v15, 0x7fff
	v_and_b32_e32 v16, 0xffff0000, v16
	v_or3_b32 v13, v13, 0, 0
	v_cndmask_b32_e32 v14, 0x7fc0, v14, vcc_lo
	v_cmp_o_f32_e32 vcc_lo, v20, v20
	v_lshrrev_b32_e32 v15, 16, v15
	v_and_b32_e32 v17, 0xffff0000, v17
	v_cndmask_b32_e32 v16, 0x7fc00000, v16, vcc_lo
	v_cmp_o_f32_e32 vcc_lo, v23, v23
	s_delay_alu instid0(VALU_DEP_2)
	v_or3_b32 v12, 0, v12, v16
	v_cndmask_b32_e32 v15, 0x7fc0, v15, vcc_lo
	v_cmp_o_f32_e32 vcc_lo, v22, v22
	global_store_b64 v[5:6], v[11:12], off
	v_cndmask_b32_e32 v16, 0x7fc00000, v17, vcc_lo
	v_cmp_o_f32_e32 vcc_lo, v24, v24
	s_delay_alu instid0(VALU_DEP_2) | instskip(SKIP_2) | instid1(VALU_DEP_2)
	v_or3_b32 v14, 0, v14, v16
	v_cndmask_b32_e32 v17, 0x7fc00000, v18, vcc_lo
	v_cmp_le_i64_e32 vcc_lo, s[6:7], v[3:4]
	v_or3_b32 v16, 0, v15, v17
	v_or3_b32 v15, v1, 0, 0
	s_or_b32 s3, vcc_lo, s3
	v_add_co_u32 v33, vcc_lo, v33, s25
	v_add_co_ci_u32_e32 v34, vcc_lo, 0, v34, vcc_lo
	v_add_co_u32 v3, vcc_lo, v3, s26
	v_add_co_ci_u32_e32 v4, vcc_lo, 0, v4, vcc_lo
	s_and_b32 s3, exec_lo, s3
	global_store_b64 v[7:8], v[13:14], off
	global_store_b64 v[9:10], v[15:16], off
	s_or_b32 s24, s3, s24
	s_delay_alu instid0(SALU_CYCLE_1)
	s_and_not1_b32 exec_lo, exec_lo, s24
	s_cbranch_execz .LBB4_29
.LBB4_10:                               ; =>This Inner Loop Header: Depth=1
	v_add_co_u32 v11, vcc_lo, s20, v33
	v_add_co_ci_u32_e32 v12, vcc_lo, s21, v34, vcc_lo
	v_add_co_u32 v13, vcc_lo, s22, v33
	v_add_co_ci_u32_e32 v14, vcc_lo, s23, v34, vcc_lo
	;; [unrolled: 2-line block ×4, first 2 shown]
	v_add_co_u32 v9, vcc_lo, s14, v33
	global_load_b64 v[15:16], v[11:12], off
	v_add_co_ci_u32_e32 v10, vcc_lo, s15, v34, vcc_lo
	global_load_b64 v[17:18], v[13:14], off
	global_load_b64 v[19:20], v[5:6], off
	;; [unrolled: 1-line block ×4, first 2 shown]
	s_and_not1_b32 vcc_lo, exec_lo, s11
	s_waitcnt vmcnt(4)
	v_lshlrev_b32_e32 v1, 16, v15
	s_cbranch_vccnz .LBB4_12
; %bb.11:                               ;   in Loop: Header=BB4_10 Depth=1
	global_load_b32 v36, v2, s[12:13]
	s_waitcnt vmcnt(0)
	v_div_scale_f32 v37, null, v36, v36, v1
	s_delay_alu instid0(VALU_DEP_1) | instskip(SKIP_2) | instid1(VALU_DEP_1)
	v_rcp_f32_e32 v38, v37
	s_waitcnt_depctr 0xfff
	v_fma_f32 v39, -v37, v38, 1.0
	v_fmac_f32_e32 v38, v39, v38
	v_div_scale_f32 v39, vcc_lo, v1, v36, v1
	s_delay_alu instid0(VALU_DEP_1) | instskip(NEXT) | instid1(VALU_DEP_1)
	v_mul_f32_e32 v40, v39, v38
	v_fma_f32 v41, -v37, v40, v39
	s_delay_alu instid0(VALU_DEP_1) | instskip(NEXT) | instid1(VALU_DEP_1)
	v_fmac_f32_e32 v40, v41, v38
	v_fma_f32 v37, -v37, v40, v39
	s_delay_alu instid0(VALU_DEP_1) | instskip(NEXT) | instid1(VALU_DEP_1)
	v_div_fmas_f32 v37, v37, v38, v40
	v_div_fixup_f32 v1, v37, v36, v1
.LBB4_12:                               ;   in Loop: Header=BB4_10 Depth=1
	s_and_not1_b32 vcc_lo, exec_lo, s11
	s_cbranch_vccnz .LBB4_14
; %bb.13:                               ;   in Loop: Header=BB4_10 Depth=1
	s_delay_alu instid0(VALU_DEP_1) | instskip(SKIP_2) | instid1(VALU_DEP_3)
	v_bfe_u32 v36, v1, 16, 1
	v_cmp_o_f32_e32 vcc_lo, v1, v1
	v_and_b32_e32 v15, 0xffff0000, v15
	v_add3_u32 v36, v1, v36, 0x7fff
	s_delay_alu instid0(VALU_DEP_1) | instskip(NEXT) | instid1(VALU_DEP_1)
	v_lshrrev_b32_e32 v36, 16, v36
	v_cndmask_b32_e32 v36, 0x7fc0, v36, vcc_lo
	s_delay_alu instid0(VALU_DEP_1)
	v_or_b32_e32 v15, v36, v15
.LBB4_14:                               ;   in Loop: Header=BB4_10 Depth=1
	s_delay_alu instid0(VALU_DEP_1)
	v_and_b32_e32 v37, 0xffff0000, v15
	s_and_not1_b32 vcc_lo, exec_lo, s11
	s_cbranch_vccnz .LBB4_16
; %bb.15:                               ;   in Loop: Header=BB4_10 Depth=1
	global_load_b32 v36, v2, s[12:13]
	s_waitcnt vmcnt(0)
	v_div_scale_f32 v38, null, v36, v36, v37
	s_delay_alu instid0(VALU_DEP_1) | instskip(SKIP_2) | instid1(VALU_DEP_1)
	v_rcp_f32_e32 v39, v38
	s_waitcnt_depctr 0xfff
	v_fma_f32 v40, -v38, v39, 1.0
	v_fmac_f32_e32 v39, v40, v39
	v_div_scale_f32 v40, vcc_lo, v37, v36, v37
	s_delay_alu instid0(VALU_DEP_1) | instskip(NEXT) | instid1(VALU_DEP_1)
	v_mul_f32_e32 v41, v40, v39
	v_fma_f32 v42, -v38, v41, v40
	s_delay_alu instid0(VALU_DEP_1) | instskip(NEXT) | instid1(VALU_DEP_1)
	v_fmac_f32_e32 v41, v42, v39
	v_fma_f32 v38, -v38, v41, v40
	s_delay_alu instid0(VALU_DEP_1) | instskip(NEXT) | instid1(VALU_DEP_1)
	v_div_fmas_f32 v38, v38, v39, v41
	v_div_fixup_f32 v37, v38, v36, v37
.LBB4_16:                               ;   in Loop: Header=BB4_10 Depth=1
	s_and_not1_b32 vcc_lo, exec_lo, s11
	s_cbranch_vccnz .LBB4_18
; %bb.17:                               ;   in Loop: Header=BB4_10 Depth=1
	s_delay_alu instid0(VALU_DEP_1) | instskip(SKIP_2) | instid1(VALU_DEP_3)
	v_bfe_u32 v36, v37, 16, 1
	v_cmp_o_f32_e32 vcc_lo, v37, v37
	v_and_b32_e32 v15, 0xffff, v15
	v_add3_u32 v36, v37, v36, 0x7fff
	s_delay_alu instid0(VALU_DEP_1) | instskip(NEXT) | instid1(VALU_DEP_1)
	v_and_b32_e32 v36, 0xffff0000, v36
	v_cndmask_b32_e32 v36, 0x7fc00000, v36, vcc_lo
	s_delay_alu instid0(VALU_DEP_1)
	v_or_b32_e32 v15, v36, v15
.LBB4_18:                               ;   in Loop: Header=BB4_10 Depth=1
	s_delay_alu instid0(VALU_DEP_1) | instskip(SKIP_1) | instid1(VALU_DEP_1)
	v_alignbit_b32 v36, v16, v15, 16
	s_and_not1_b32 vcc_lo, exec_lo, s11
	v_and_b32_e32 v39, 0xffff0000, v36
	s_cbranch_vccnz .LBB4_20
; %bb.19:                               ;   in Loop: Header=BB4_10 Depth=1
	global_load_b32 v36, v2, s[12:13]
	s_waitcnt vmcnt(0)
	v_div_scale_f32 v38, null, v36, v36, v39
	s_delay_alu instid0(VALU_DEP_1) | instskip(SKIP_2) | instid1(VALU_DEP_1)
	v_rcp_f32_e32 v40, v38
	s_waitcnt_depctr 0xfff
	v_fma_f32 v41, -v38, v40, 1.0
	v_fmac_f32_e32 v40, v41, v40
	v_div_scale_f32 v41, vcc_lo, v39, v36, v39
	s_delay_alu instid0(VALU_DEP_1) | instskip(NEXT) | instid1(VALU_DEP_1)
	v_mul_f32_e32 v42, v41, v40
	v_fma_f32 v43, -v38, v42, v41
	s_delay_alu instid0(VALU_DEP_1) | instskip(NEXT) | instid1(VALU_DEP_1)
	v_fmac_f32_e32 v42, v43, v40
	v_fma_f32 v38, -v38, v42, v41
	s_delay_alu instid0(VALU_DEP_1) | instskip(NEXT) | instid1(VALU_DEP_1)
	v_div_fmas_f32 v38, v38, v40, v42
	v_div_fixup_f32 v39, v38, v36, v39
.LBB4_20:                               ;   in Loop: Header=BB4_10 Depth=1
	s_and_not1_b32 vcc_lo, exec_lo, s11
	s_cbranch_vccnz .LBB4_22
; %bb.21:                               ;   in Loop: Header=BB4_10 Depth=1
	s_delay_alu instid0(VALU_DEP_1) | instskip(SKIP_2) | instid1(VALU_DEP_3)
	v_bfe_u32 v36, v39, 16, 1
	v_cmp_o_f32_e32 vcc_lo, v39, v39
	v_and_b32_e32 v16, 0xffff0000, v16
	v_add3_u32 v36, v39, v36, 0x7fff
	s_delay_alu instid0(VALU_DEP_1) | instskip(NEXT) | instid1(VALU_DEP_1)
	v_lshrrev_b32_e32 v36, 16, v36
	v_cndmask_b32_e32 v36, 0x7fc0, v36, vcc_lo
	s_delay_alu instid0(VALU_DEP_1)
	v_or_b32_e32 v16, v36, v16
.LBB4_22:                               ;   in Loop: Header=BB4_10 Depth=1
	s_delay_alu instid0(VALU_DEP_1)
	v_and_b32_e32 v40, 0xffff0000, v16
	s_and_not1_b32 vcc_lo, exec_lo, s11
	s_cbranch_vccnz .LBB4_24
; %bb.23:                               ;   in Loop: Header=BB4_10 Depth=1
	global_load_b32 v36, v2, s[12:13]
	s_waitcnt vmcnt(0)
	v_div_scale_f32 v38, null, v36, v36, v40
	s_delay_alu instid0(VALU_DEP_1) | instskip(SKIP_2) | instid1(VALU_DEP_1)
	v_rcp_f32_e32 v41, v38
	s_waitcnt_depctr 0xfff
	v_fma_f32 v42, -v38, v41, 1.0
	v_fmac_f32_e32 v41, v42, v41
	v_div_scale_f32 v42, vcc_lo, v40, v36, v40
	s_delay_alu instid0(VALU_DEP_1) | instskip(NEXT) | instid1(VALU_DEP_1)
	v_mul_f32_e32 v43, v42, v41
	v_fma_f32 v44, -v38, v43, v42
	s_delay_alu instid0(VALU_DEP_1) | instskip(NEXT) | instid1(VALU_DEP_1)
	v_fmac_f32_e32 v43, v44, v41
	v_fma_f32 v38, -v38, v43, v42
	s_delay_alu instid0(VALU_DEP_1) | instskip(NEXT) | instid1(VALU_DEP_1)
	v_div_fmas_f32 v38, v38, v41, v43
	v_div_fixup_f32 v40, v38, v36, v40
.LBB4_24:                               ;   in Loop: Header=BB4_10 Depth=1
	s_and_not1_b32 vcc_lo, exec_lo, s11
	s_cbranch_vccnz .LBB4_26
; %bb.25:                               ;   in Loop: Header=BB4_10 Depth=1
	s_delay_alu instid0(VALU_DEP_1) | instskip(SKIP_2) | instid1(VALU_DEP_3)
	v_bfe_u32 v36, v40, 16, 1
	v_cmp_o_f32_e32 vcc_lo, v40, v40
	v_and_b32_e32 v16, 0xffff, v16
	v_add3_u32 v36, v40, v36, 0x7fff
	s_delay_alu instid0(VALU_DEP_1) | instskip(NEXT) | instid1(VALU_DEP_1)
	v_and_b32_e32 v36, 0xffff0000, v36
	v_cndmask_b32_e32 v36, 0x7fc00000, v36, vcc_lo
	s_delay_alu instid0(VALU_DEP_1)
	v_or_b32_e32 v16, v36, v16
.LBB4_26:                               ;   in Loop: Header=BB4_10 Depth=1
	v_cndmask_b32_e64 v41, v1, -v1, s28
	v_cndmask_b32_e64 v55, v39, -v39, s28
	;; [unrolled: 1-line block ×3, first 2 shown]
	s_waitcnt vmcnt(1)
	s_delay_alu instid0(VALU_DEP_3) | instskip(SKIP_1) | instid1(VALU_DEP_2)
	v_dual_mul_f32 v1, v41, v41 :: v_dual_lshlrev_b32 v38, 16, v23
	v_fma_f32 v39, -v26, v41, v41
	v_fma_f32 v36, -v25, v1, v1
	s_delay_alu instid0(VALU_DEP_1) | instskip(SKIP_2) | instid1(VALU_DEP_1)
	v_fmac_f32_e32 v36, v25, v38
	s_waitcnt vmcnt(0)
	v_lshlrev_b32_e32 v42, 16, v21
	v_max_f32_e32 v1, v42, v42
	s_delay_alu instid0(VALU_DEP_1) | instskip(NEXT) | instid1(VALU_DEP_1)
	v_max_f32_e32 v1, v1, v36
	v_mul_f32_e32 v38, 0x4f800000, v1
	v_cmp_gt_f32_e32 vcc_lo, 0xf800000, v1
	s_delay_alu instid0(VALU_DEP_2) | instskip(NEXT) | instid1(VALU_DEP_1)
	v_cndmask_b32_e32 v38, v1, v38, vcc_lo
	v_sqrt_f32_e32 v42, v38
	s_waitcnt_depctr 0xfff
	v_add_nc_u32_e32 v43, -1, v42
	v_add_nc_u32_e32 v44, 1, v42
	s_delay_alu instid0(VALU_DEP_2) | instskip(NEXT) | instid1(VALU_DEP_2)
	v_fma_f32 v45, -v43, v42, v38
	v_fma_f32 v46, -v44, v42, v38
	s_delay_alu instid0(VALU_DEP_2) | instskip(SKIP_2) | instid1(VALU_DEP_3)
	v_cmp_ge_f32_e64 s3, 0, v45
	v_and_b32_e32 v45, 0xffff0000, v21
	v_alignbit_b32 v21, v22, v21, 16
	v_cndmask_b32_e64 v42, v42, v43, s3
	v_cmp_lt_f32_e64 s3, 0, v46
	v_cndmask_b32_e64 v43, v37, -v37, s28
	v_and_b32_e32 v46, 0xffff0000, v23
	v_alignbit_b32 v23, v24, v23, 16
	s_delay_alu instid0(VALU_DEP_4) | instskip(NEXT) | instid1(VALU_DEP_4)
	v_cndmask_b32_e64 v42, v42, v44, s3
	v_mul_f32_e32 v44, v43, v43
	v_fma_f32 v40, -v26, v43, v43
	s_delay_alu instid0(VALU_DEP_4) | instskip(NEXT) | instid1(VALU_DEP_4)
	v_and_b32_e32 v23, 0xffff0000, v23
	v_mul_f32_e32 v37, 0x37800000, v42
	s_delay_alu instid0(VALU_DEP_1) | instskip(SKIP_3) | instid1(VALU_DEP_3)
	v_cndmask_b32_e32 v42, v42, v37, vcc_lo
	v_fma_f32 v37, -v25, v44, v44
	v_max_f32_e32 v44, v45, v45
	v_cmp_class_f32_e64 vcc_lo, v38, 0x260
	v_fmac_f32_e32 v37, v25, v46
	v_cndmask_b32_e32 v42, v42, v38, vcc_lo
	s_delay_alu instid0(VALU_DEP_2) | instskip(NEXT) | instid1(VALU_DEP_1)
	v_max_f32_e32 v38, v44, v37
	v_mul_f32_e32 v46, 0x4f800000, v38
	v_cmp_gt_f32_e64 s3, 0xf800000, v38
	s_delay_alu instid0(VALU_DEP_1) | instskip(NEXT) | instid1(VALU_DEP_1)
	v_cndmask_b32_e64 v46, v38, v46, s3
	v_sqrt_f32_e32 v48, v46
	s_waitcnt_depctr 0xfff
	v_add_nc_u32_e32 v51, -1, v48
	v_div_scale_f32 v45, null, v28, v28, v42
	v_div_scale_f32 v49, vcc_lo, v42, v28, v42
	s_delay_alu instid0(VALU_DEP_3) | instskip(NEXT) | instid1(VALU_DEP_3)
	v_fma_f32 v54, -v51, v48, v46
	v_rcp_f32_e32 v44, v45
	v_add_nc_u32_e32 v52, 1, v48
	s_delay_alu instid0(VALU_DEP_2) | instskip(NEXT) | instid1(VALU_DEP_2)
	v_cmp_ge_f32_e64 s4, 0, v54
	v_fma_f32 v41, -v52, v48, v46
	s_delay_alu instid0(VALU_DEP_2) | instskip(SKIP_4) | instid1(VALU_DEP_3)
	v_cndmask_b32_e64 v48, v48, v51, s4
	s_waitcnt_depctr 0xfff
	v_fma_f32 v47, -v45, v44, 1.0
	v_mul_f32_e32 v51, v55, v55
	v_cmp_lt_f32_e64 s4, 0, v41
	v_dual_fmac_f32 v44, v47, v44 :: v_dual_lshlrev_b32 v47, 16, v19
	s_delay_alu instid0(VALU_DEP_1) | instskip(NEXT) | instid1(VALU_DEP_1)
	v_dual_fmac_f32 v39, v26, v47 :: v_dual_mul_f32 v50, v49, v44
	v_fma_f32 v53, -v45, v50, v49
	s_delay_alu instid0(VALU_DEP_1) | instskip(NEXT) | instid1(VALU_DEP_1)
	v_fmac_f32_e32 v50, v53, v44
	v_fma_f32 v45, -v45, v50, v49
	s_delay_alu instid0(VALU_DEP_1)
	v_div_fmas_f32 v44, v45, v44, v50
	v_and_b32_e32 v45, 0xffff0000, v21
	v_fma_f32 v21, -v25, v51, v51
	v_cmp_class_f32_e64 vcc_lo, v46, 0x260
	v_and_b32_e32 v50, 0xffff0000, v19
	v_div_fixup_f32 v42, v44, v28, v42
	v_max_f32_e32 v44, v45, v45
	v_fmac_f32_e32 v21, v25, v23
	v_cndmask_b32_e64 v41, v48, v52, s4
	v_mul_f32_e32 v45, v35, v39
	v_alignbit_b32 v19, v20, v19, 16
	s_delay_alu instid0(VALU_DEP_4) | instskip(NEXT) | instid1(VALU_DEP_4)
	v_max_f32_e32 v23, v44, v21
	v_mul_f32_e32 v48, 0x37800000, v41
	s_delay_alu instid0(VALU_DEP_1) | instskip(NEXT) | instid1(VALU_DEP_3)
	v_cndmask_b32_e64 v41, v41, v48, s3
	v_mul_f32_e32 v48, 0x4f800000, v23
	v_cmp_gt_f32_e64 s3, 0xf800000, v23
	s_delay_alu instid0(VALU_DEP_3) | instskip(NEXT) | instid1(VALU_DEP_2)
	v_cndmask_b32_e32 v41, v41, v46, vcc_lo
	v_cndmask_b32_e64 v48, v23, v48, s3
	s_delay_alu instid0(VALU_DEP_2) | instskip(NEXT) | instid1(VALU_DEP_2)
	v_div_scale_f32 v46, null, v28, v28, v41
	v_sqrt_f32_e32 v52, v48
	s_delay_alu instid0(VALU_DEP_1) | instskip(SKIP_4) | instid1(VALU_DEP_3)
	v_rcp_f32_e32 v49, v46
	s_waitcnt_depctr 0xfff
	v_add_nc_u32_e32 v59, 1, v52
	v_fma_f32 v53, -v46, v49, 1.0
	v_add_f32_e32 v42, v42, v27
	v_fma_f32 v62, -v59, v52, v48
	s_delay_alu instid0(VALU_DEP_3) | instskip(NEXT) | instid1(VALU_DEP_3)
	v_fmac_f32_e32 v49, v53, v49
	v_div_scale_f32 v44, null, v42, v42, v45
	v_div_scale_f32 v54, vcc_lo, v45, v42, v45
	s_delay_alu instid0(VALU_DEP_2) | instskip(SKIP_2) | instid1(VALU_DEP_1)
	v_rcp_f32_e32 v47, v44
	s_waitcnt_depctr 0xfff
	v_fma_f32 v51, -v44, v47, 1.0
	v_fmac_f32_e32 v47, v51, v47
	v_div_scale_f32 v51, s4, v41, v28, v41
	s_delay_alu instid0(VALU_DEP_1) | instskip(NEXT) | instid1(VALU_DEP_1)
	v_dual_mul_f32 v53, v54, v47 :: v_dual_mul_f32 v58, v51, v49
	v_fma_f32 v60, -v44, v53, v54
	s_delay_alu instid0(VALU_DEP_1) | instskip(NEXT) | instid1(VALU_DEP_1)
	v_dual_fmac_f32 v53, v60, v47 :: v_dual_and_b32 v24, 0xffff0000, v24
	v_fma_f32 v44, -v44, v53, v54
	s_delay_alu instid0(VALU_DEP_1)
	v_div_fmas_f32 v44, v44, v47, v53
	v_and_b32_e32 v47, 0xffff0000, v22
	v_fma_f32 v43, -v46, v58, v51
	v_add_nc_u32_e32 v56, -1, v52
	s_mov_b32 vcc_lo, s4
	v_div_fixup_f32 v42, v44, v42, v45
	s_delay_alu instid0(VALU_DEP_3) | instskip(SKIP_1) | instid1(VALU_DEP_2)
	v_fmac_f32_e32 v58, v43, v49
	v_mul_f32_e32 v43, v57, v57
	v_fma_f32 v46, -v46, v58, v51
	s_delay_alu instid0(VALU_DEP_2) | instskip(SKIP_2) | instid1(VALU_DEP_4)
	v_fma_f32 v22, -v25, v43, v43
	v_max_f32_e32 v43, v47, v47
	v_fma_f32 v61, -v56, v52, v48
	v_div_fmas_f32 v46, v46, v49, v58
	v_cmp_class_f32_e64 vcc_lo, v48, 0x260
	v_fmac_f32_e32 v22, v25, v24
	s_delay_alu instid0(VALU_DEP_4) | instskip(NEXT) | instid1(VALU_DEP_4)
	v_cmp_ge_f32_e64 s5, 0, v61
	v_div_fixup_f32 v41, v46, v28, v41
	v_fmac_f32_e32 v40, v26, v50
	s_delay_alu instid0(VALU_DEP_3) | instskip(SKIP_1) | instid1(VALU_DEP_4)
	v_cndmask_b32_e64 v52, v52, v56, s5
	v_cmp_lt_f32_e64 s5, 0, v62
	v_add_f32_e32 v41, v41, v27
	s_delay_alu instid0(VALU_DEP_4) | instskip(NEXT) | instid1(VALU_DEP_3)
	v_mul_f32_e32 v47, v35, v40
	v_cndmask_b32_e64 v52, v52, v59, s5
	s_delay_alu instid0(VALU_DEP_1) | instskip(NEXT) | instid1(VALU_DEP_1)
	v_mul_f32_e32 v49, 0x37800000, v52
	v_cndmask_b32_e64 v46, v52, v49, s3
	s_delay_alu instid0(VALU_DEP_1) | instskip(SKIP_1) | instid1(VALU_DEP_2)
	v_cndmask_b32_e32 v46, v46, v48, vcc_lo
	v_div_scale_f32 v56, vcc_lo, v47, v41, v47
	v_div_scale_f32 v48, null, v28, v28, v46
	s_delay_alu instid0(VALU_DEP_1) | instskip(SKIP_4) | instid1(VALU_DEP_3)
	v_rcp_f32_e32 v51, v48
	s_waitcnt_depctr 0xfff
	v_fma_f32 v54, -v48, v51, 1.0
	v_max_f32_e32 v24, v43, v22
	v_div_scale_f32 v43, null, v41, v41, v47
	v_fmac_f32_e32 v51, v54, v51
	s_delay_alu instid0(VALU_DEP_3) | instskip(NEXT) | instid1(VALU_DEP_3)
	v_cmp_gt_f32_e64 s3, 0xf800000, v24
	v_rcp_f32_e32 v49, v43
	s_waitcnt_depctr 0xfff
	v_fma_f32 v52, -v43, v49, 1.0
	s_delay_alu instid0(VALU_DEP_1) | instskip(SKIP_1) | instid1(VALU_DEP_2)
	v_fmac_f32_e32 v49, v52, v49
	v_div_scale_f32 v52, s4, v46, v28, v46
	v_mul_f32_e32 v54, v56, v49
	s_delay_alu instid0(VALU_DEP_2) | instskip(NEXT) | instid1(VALU_DEP_2)
	v_mul_f32_e32 v59, v52, v51
	v_fma_f32 v61, -v43, v54, v56
	v_and_b32_e32 v63, 0xffff0000, v19
	s_delay_alu instid0(VALU_DEP_3) | instskip(SKIP_1) | instid1(VALU_DEP_2)
	v_fma_f32 v19, -v48, v59, v52
	v_mul_f32_e32 v50, 0x4f800000, v24
	v_dual_fmac_f32 v54, v61, v49 :: v_dual_fmac_f32 v59, v19, v51
	s_delay_alu instid0(VALU_DEP_2) | instskip(SKIP_1) | instid1(VALU_DEP_3)
	v_cndmask_b32_e64 v50, v24, v50, s3
	v_fma_f32 v19, -v26, v55, v55
	v_fma_f32 v43, -v43, v54, v56
	s_delay_alu instid0(VALU_DEP_4) | instskip(NEXT) | instid1(VALU_DEP_4)
	v_fma_f32 v48, -v48, v59, v52
	v_sqrt_f32_e32 v53, v50
	s_delay_alu instid0(VALU_DEP_3) | instskip(NEXT) | instid1(VALU_DEP_3)
	v_fmac_f32_e32 v19, v26, v63
	v_div_fmas_f32 v43, v43, v49, v54
	s_mov_b32 vcc_lo, s4
	v_div_fmas_f32 v48, v48, v51, v59
	v_cmp_class_f32_e64 vcc_lo, v50, 0x260
	s_delay_alu instid0(VALU_DEP_3) | instskip(SKIP_4) | instid1(VALU_DEP_3)
	v_div_fixup_f32 v41, v43, v41, v47
	s_waitcnt_depctr 0xfff
	v_add_nc_u32_e32 v58, -1, v53
	v_add_nc_u32_e32 v60, 1, v53
	v_div_fixup_f32 v46, v48, v28, v46
	v_fma_f32 v62, -v58, v53, v50
	s_delay_alu instid0(VALU_DEP_3) | instskip(NEXT) | instid1(VALU_DEP_3)
	v_fma_f32 v64, -v60, v53, v50
	v_add_f32_e32 v46, v46, v27
	s_delay_alu instid0(VALU_DEP_3) | instskip(NEXT) | instid1(VALU_DEP_1)
	v_cmp_ge_f32_e64 s5, 0, v62
	v_cndmask_b32_e64 v53, v53, v58, s5
	s_delay_alu instid0(VALU_DEP_4) | instskip(NEXT) | instid1(VALU_DEP_1)
	v_cmp_lt_f32_e64 s5, 0, v64
	v_cndmask_b32_e64 v53, v53, v60, s5
	s_delay_alu instid0(VALU_DEP_1) | instskip(NEXT) | instid1(VALU_DEP_1)
	v_mul_f32_e32 v49, 0x37800000, v53
	v_cndmask_b32_e64 v48, v53, v49, s3
	s_delay_alu instid0(VALU_DEP_1) | instskip(NEXT) | instid1(VALU_DEP_1)
	v_dual_mul_f32 v49, v35, v19 :: v_dual_cndmask_b32 v48, v48, v50
	v_div_scale_f32 v50, null, v46, v46, v49
	v_div_scale_f32 v56, vcc_lo, v49, v46, v49
	s_delay_alu instid0(VALU_DEP_3) | instskip(NEXT) | instid1(VALU_DEP_3)
	v_div_scale_f32 v51, null, v28, v28, v48
	v_rcp_f32_e32 v52, v50
	s_delay_alu instid0(VALU_DEP_1) | instskip(SKIP_3) | instid1(VALU_DEP_1)
	v_rcp_f32_e32 v53, v51
	s_waitcnt_depctr 0xfff
	v_fma_f32 v54, -v50, v52, 1.0
	v_fma_f32 v55, -v51, v53, 1.0
	v_dual_fmac_f32 v52, v54, v52 :: v_dual_fmac_f32 v53, v55, v53
	v_div_scale_f32 v54, s3, v48, v28, v48
	s_delay_alu instid0(VALU_DEP_1) | instskip(NEXT) | instid1(VALU_DEP_1)
	v_dual_mul_f32 v55, v56, v52 :: v_dual_mul_f32 v58, v54, v53
	v_fma_f32 v59, -v50, v55, v56
	s_delay_alu instid0(VALU_DEP_2) | instskip(NEXT) | instid1(VALU_DEP_2)
	v_fma_f32 v60, -v51, v58, v54
	v_fmac_f32_e32 v55, v59, v52
	v_and_b32_e32 v59, 0xffff0000, v20
	v_fma_f32 v20, -v26, v57, v57
	s_delay_alu instid0(VALU_DEP_4)
	v_fmac_f32_e32 v58, v60, v53
	v_and_b32_e32 v57, 0xffff0000, v17
	v_fma_f32 v50, -v50, v55, v56
	v_lshlrev_b32_e32 v56, 16, v17
	v_alignbit_b32 v17, v18, v17, 16
	v_fma_f32 v51, -v51, v58, v54
	v_and_b32_e32 v18, 0xffff0000, v18
	v_div_fmas_f32 v50, v50, v52, v55
	s_mov_b32 vcc_lo, s3
	v_and_b32_e32 v17, 0xffff0000, v17
	v_div_fmas_f32 v51, v51, v53, v58
	v_fma_f32 v60, -v32, v57, v57
	v_div_fixup_f32 v43, v50, v46, v49
	s_delay_alu instid0(VALU_DEP_3) | instskip(NEXT) | instid1(VALU_DEP_3)
	v_div_fixup_f32 v48, v51, v28, v48
	v_cndmask_b32_e64 v57, v57, v60, s2
	s_delay_alu instid0(VALU_DEP_2) | instskip(SKIP_2) | instid1(VALU_DEP_4)
	v_add_f32_e32 v48, v48, v27
	v_fmac_f32_e32 v20, v26, v59
	v_fma_f32 v59, -v32, v56, v56
	v_sub_f32_e32 v41, v57, v41
	s_delay_alu instid0(VALU_DEP_3) | instskip(NEXT) | instid1(VALU_DEP_3)
	v_mul_f32_e32 v51, v35, v20
	v_cndmask_b32_e64 v56, v56, v59, s2
	v_fma_f32 v59, -v32, v17, v17
	s_delay_alu instid0(VALU_DEP_3) | instskip(SKIP_1) | instid1(VALU_DEP_3)
	v_div_scale_f32 v52, null, v48, v48, v51
	v_div_scale_f32 v55, vcc_lo, v51, v48, v51
	v_cndmask_b32_e64 v17, v17, v59, s2
	s_delay_alu instid0(VALU_DEP_3) | instskip(NEXT) | instid1(VALU_DEP_1)
	v_rcp_f32_e32 v53, v52
	v_dual_sub_f32 v42, v56, v42 :: v_dual_sub_f32 v17, v17, v43
	v_bfe_u32 v43, v41, 16, 1
	s_delay_alu instid0(VALU_DEP_2) | instskip(SKIP_3) | instid1(VALU_DEP_2)
	v_bfe_u32 v45, v42, 16, 1
	s_waitcnt_depctr 0xfff
	v_fma_f32 v54, -v52, v53, 1.0
	v_add3_u32 v43, v41, v43, 0x7fff
	v_fmac_f32_e32 v53, v54, v53
	s_delay_alu instid0(VALU_DEP_1) | instskip(NEXT) | instid1(VALU_DEP_1)
	v_dual_mul_f32 v54, v55, v53 :: v_dual_and_b32 v43, 0xffff0000, v43
	v_fma_f32 v58, -v52, v54, v55
	s_delay_alu instid0(VALU_DEP_1) | instskip(SKIP_1) | instid1(VALU_DEP_2)
	v_fmac_f32_e32 v54, v58, v53
	v_fma_f32 v58, -v32, v18, v18
	v_fma_f32 v52, -v52, v54, v55
	s_delay_alu instid0(VALU_DEP_2) | instskip(NEXT) | instid1(VALU_DEP_2)
	v_cndmask_b32_e64 v18, v18, v58, s2
	v_div_fmas_f32 v44, v52, v53, v54
	v_cmp_o_f32_e32 vcc_lo, v42, v42
	s_delay_alu instid0(VALU_DEP_2) | instskip(NEXT) | instid1(VALU_DEP_1)
	v_div_fixup_f32 v44, v44, v48, v51
	v_sub_f32_e32 v18, v18, v44
	v_add3_u32 v44, v42, v45, 0x7fff
	v_bfe_u32 v45, v17, 16, 1
	s_delay_alu instid0(VALU_DEP_3) | instskip(NEXT) | instid1(VALU_DEP_3)
	v_bfe_u32 v46, v18, 16, 1
	v_lshrrev_b32_e32 v44, 16, v44
	s_delay_alu instid0(VALU_DEP_3) | instskip(NEXT) | instid1(VALU_DEP_3)
	v_add3_u32 v45, v17, v45, 0x7fff
	v_add3_u32 v46, v18, v46, 0x7fff
	s_delay_alu instid0(VALU_DEP_3) | instskip(SKIP_1) | instid1(VALU_DEP_4)
	v_cndmask_b32_e32 v42, 0x7fc0, v44, vcc_lo
	v_cmp_o_f32_e32 vcc_lo, v41, v41
	v_lshrrev_b32_e32 v44, 16, v45
	s_delay_alu instid0(VALU_DEP_4) | instskip(SKIP_2) | instid1(VALU_DEP_2)
	v_and_b32_e32 v45, 0xffff0000, v46
	v_cndmask_b32_e32 v41, 0x7fc00000, v43, vcc_lo
	v_cmp_o_f32_e32 vcc_lo, v17, v17
	v_or_b32_e32 v41, v41, v42
	v_cndmask_b32_e32 v17, 0x7fc0, v44, vcc_lo
	v_cmp_o_f32_e32 vcc_lo, v18, v18
	v_cndmask_b32_e32 v18, 0x7fc00000, v45, vcc_lo
	s_and_not1_b32 vcc_lo, exec_lo, s11
	s_delay_alu instid0(VALU_DEP_1)
	v_or3_b32 v18, 0, v17, v18
	v_or3_b32 v17, v41, 0, 0
	global_store_b64 v[13:14], v[17:18], off
	s_cbranch_vccnz .LBB4_9
; %bb.27:                               ;   in Loop: Header=BB4_10 Depth=1
	global_store_b64 v[11:12], v[15:16], off
	s_branch .LBB4_9
.LBB4_28:
                                        ; implicit-def: $sgpr4
	v_mov_b32_e32 v29, s4
	s_branch .LBB4_2
.LBB4_29:
	s_or_b32 exec_lo, exec_lo, s10
	s_mov_b32 s2, 0
.LBB4_30:
	s_delay_alu instid0(SALU_CYCLE_1)
	s_and_not1_b32 vcc_lo, exec_lo, s2
	s_cbranch_vccnz .LBB4_117
; %bb.31:
	v_cmp_lt_i64_e64 s2, s[6:7], 1
	s_delay_alu instid0(VALU_DEP_1)
	s_and_b32 vcc_lo, exec_lo, s2
	s_cbranch_vccnz .LBB4_117
; %bb.32:
	v_div_scale_f32 v3, null, v31, v31, v29
	s_load_b32 s1, s[0:1], 0xd34
	v_div_scale_f32 v4, vcc_lo, v29, v31, v29
	s_delay_alu instid0(VALU_DEP_2)
	v_rcp_f32_e32 v5, v3
	v_dual_mov_b32 v2, 0 :: v_dual_mul_f32 v11, v29, v30
	v_cmp_gt_u64_e64 s2, 0x10000, s[6:7]
	v_cmp_neq_f32_e64 s0, 0, v30
	s_waitcnt_depctr 0xfff
	v_fma_f32 v6, -v3, v5, 1.0
	s_delay_alu instid0(VALU_DEP_1)
	v_fmac_f32_e32 v5, v6, v5
	v_lshlrev_b32_e32 v1, 1, v0
	s_waitcnt lgkmcnt(0)
	s_and_b32 s1, s1, 0xffff
	s_and_b32 s2, s2, exec_lo
	s_cselect_b32 s11, s7, 0
	v_mul_f32_e32 v6, v4, v5
	v_add_co_u32 v12, s3, s22, v1
	s_delay_alu instid0(VALU_DEP_1) | instskip(SKIP_1) | instid1(VALU_DEP_1)
	v_add_co_ci_u32_e64 v13, null, s23, 0, s3
	v_add_co_u32 v14, s3, s20, v1
	v_add_co_ci_u32_e64 v15, null, s21, 0, s3
	v_add_co_u32 v16, s3, s18, v1
	s_delay_alu instid0(VALU_DEP_1) | instskip(SKIP_1) | instid1(VALU_DEP_1)
	v_add_co_ci_u32_e64 v17, null, s19, 0, s3
	v_add_co_u32 v18, s3, s16, v1
	v_add_co_ci_u32_e64 v19, null, s17, 0, s3
	v_add_co_u32 v20, s3, s14, v1
	v_fma_f32 v7, -v3, v6, v4
	v_add_co_ci_u32_e64 v21, null, s15, 0, s3
	s_mul_i32 s3, s1, 3
	s_cselect_b32 s10, s6, 0x10000
	v_add_co_u32 v37, s3, s3, v0
	s_delay_alu instid0(VALU_DEP_1)
	v_add_co_ci_u32_e64 v38, null, 0, 0, s3
	v_add_co_u32 v47, s3, v0, s1
	v_fmac_f32_e32 v6, v7, v5
	s_lshl_b32 s2, s1, 1
	s_cmp_lg_u64 s[12:13], 0
	v_add_co_u32 v51, s2, s2, v0
	s_delay_alu instid0(VALU_DEP_2) | instskip(SKIP_3) | instid1(VALU_DEP_2)
	v_fma_f32 v7, -v3, v6, v4
	v_mad_u64_u32 v[3:4], null, s1, 6, v[1:2]
	s_cselect_b32 s24, -1, 0
	s_lshl_b32 s25, s1, 2
	v_div_fmas_f32 v5, v7, v5, v6
	v_add_co_u32 v1, s4, s25, v1
	v_add_co_ci_u32_e64 v52, null, 0, 0, s2
	s_delay_alu instid0(VALU_DEP_4)
	v_add_co_u32 v23, vcc_lo, s22, v3
	v_add_co_ci_u32_e32 v24, vcc_lo, s23, v4, vcc_lo
	v_div_fixup_f32 v22, v5, v31, v29
	v_add_co_u32 v29, vcc_lo, s20, v3
	v_add_co_ci_u32_e32 v30, vcc_lo, s21, v4, vcc_lo
	v_add_co_u32 v31, vcc_lo, s18, v3
	v_add_co_ci_u32_e32 v32, vcc_lo, s19, v4, vcc_lo
	;; [unrolled: 2-line block ×3, first 2 shown]
	v_add_co_u32 v35, vcc_lo, s14, v3
	v_add_co_ci_u32_e64 v3, null, 0, 0, s4
	v_add_co_ci_u32_e32 v36, vcc_lo, s15, v4, vcc_lo
	v_add_co_u32 v39, vcc_lo, s22, v1
	s_delay_alu instid0(VALU_DEP_3)
	v_add_co_ci_u32_e32 v40, vcc_lo, s23, v3, vcc_lo
	v_add_co_u32 v41, vcc_lo, s20, v1
	v_add_co_ci_u32_e32 v42, vcc_lo, s21, v3, vcc_lo
	v_add_co_u32 v43, vcc_lo, s18, v1
	;; [unrolled: 2-line block ×4, first 2 shown]
	v_lshlrev_b32_e32 v1, 1, v47
	v_add_co_ci_u32_e32 v49, vcc_lo, s15, v3, vcc_lo
	v_add_co_ci_u32_e64 v50, null, 0, 0, s3
	s_delay_alu instid0(VALU_DEP_3) | instskip(NEXT) | instid1(VALU_DEP_1)
	v_add_co_u32 v53, s2, s22, v1
	v_add_co_ci_u32_e64 v54, null, s23, 0, s2
	v_add_co_u32 v55, s2, s20, v1
	s_delay_alu instid0(VALU_DEP_1) | instskip(SKIP_1) | instid1(VALU_DEP_1)
	v_add_co_ci_u32_e64 v56, null, s21, 0, s2
	v_add_co_u32 v57, s2, s18, v1
	v_add_co_ci_u32_e64 v58, null, s19, 0, s2
	v_add_co_u32 v59, s2, s16, v1
	s_delay_alu instid0(VALU_DEP_1) | instskip(SKIP_1) | instid1(VALU_DEP_1)
	v_add_co_ci_u32_e64 v60, null, s17, 0, s2
	v_add_co_u32 v61, s2, s14, v1
	v_add_co_ci_u32_e64 v62, null, s15, 0, s2
	s_mov_b32 s16, 0
	s_mov_b64 s[14:15], 0
	s_lshl_b32 s17, s1, 3
	s_branch .LBB4_34
.LBB4_33:                               ;   in Loop: Header=BB4_34 Depth=1
	s_or_b32 exec_lo, exec_lo, s1
	v_add_co_u32 v12, vcc_lo, v12, s17
	v_add_co_ci_u32_e32 v13, vcc_lo, 0, v13, vcc_lo
	v_add_co_u32 v14, vcc_lo, v14, s17
	v_add_co_ci_u32_e32 v15, vcc_lo, 0, v15, vcc_lo
	;; [unrolled: 2-line block ×17, first 2 shown]
	s_add_u32 s14, s14, s25
	v_add_co_u32 v57, vcc_lo, v57, s17
	s_addc_u32 s15, s15, 0
	v_add_co_ci_u32_e32 v58, vcc_lo, 0, v58, vcc_lo
	v_cmp_ge_i64_e64 s1, s[14:15], s[6:7]
	v_cmp_lt_u64_e64 s2, 0xffff, s[14:15]
	v_add_co_u32 v59, vcc_lo, v59, s17
	v_add_co_ci_u32_e32 v60, vcc_lo, 0, v60, vcc_lo
	v_add_co_u32 v61, vcc_lo, v61, s17
	v_add_co_ci_u32_e32 v62, vcc_lo, 0, v62, vcc_lo
	s_or_b32 s1, s1, s2
	s_delay_alu instid0(SALU_CYCLE_1)
	s_and_b32 vcc_lo, exec_lo, s1
	s_cbranch_vccnz .LBB4_117
.LBB4_34:                               ; =>This Inner Loop Header: Depth=1
	v_add_co_u32 v3, s1, v0, s14
	s_delay_alu instid0(VALU_DEP_1) | instskip(SKIP_2) | instid1(VALU_DEP_3)
	v_add_co_ci_u32_e64 v4, null, 0, s15, s1
	v_mov_b32_e32 v5, 0
	v_dual_mov_b32 v6, 0 :: v_dual_mov_b32 v1, 0
	v_cmp_gt_u64_e64 s1, s[10:11], v[3:4]
	s_delay_alu instid0(VALU_DEP_2) | instskip(NEXT) | instid1(VALU_DEP_2)
	v_dual_mov_b32 v3, v5 :: v_dual_mov_b32 v4, v6
	s_and_saveexec_b32 s2, s1
	s_cbranch_execz .LBB4_36
; %bb.35:                               ;   in Loop: Header=BB4_34 Depth=1
	v_add_co_u32 v3, vcc_lo, v12, s8
	v_add_co_ci_u32_e32 v4, vcc_lo, s9, v13, vcc_lo
	global_load_u16 v7, v[3:4], off
	v_add_co_u32 v3, vcc_lo, v14, s8
	v_add_co_ci_u32_e32 v4, vcc_lo, s9, v15, vcc_lo
	global_load_u16 v1, v[3:4], off
	s_waitcnt vmcnt(1)
	v_dual_mov_b32 v4, s16 :: v_dual_and_b32 v3, 0xffff, v7
.LBB4_36:                               ;   in Loop: Header=BB4_34 Depth=1
	s_or_b32 exec_lo, exec_lo, s2
	v_mov_b32_e32 v66, 0
	s_and_saveexec_b32 s2, s1
	s_cbranch_execz .LBB4_38
; %bb.37:                               ;   in Loop: Header=BB4_34 Depth=1
	v_add_co_u32 v5, vcc_lo, v16, s8
	v_add_co_ci_u32_e32 v6, vcc_lo, s9, v17, vcc_lo
	global_load_u16 v7, v[5:6], off
	v_add_co_u32 v5, vcc_lo, v18, s8
	v_add_co_ci_u32_e32 v6, vcc_lo, s9, v19, vcc_lo
	global_load_u16 v66, v[5:6], off
	s_waitcnt vmcnt(1)
	v_dual_mov_b32 v6, s16 :: v_dual_and_b32 v5, 0xffff, v7
.LBB4_38:                               ;   in Loop: Header=BB4_34 Depth=1
	s_or_b32 exec_lo, exec_lo, s2
	v_mov_b32_e32 v7, 0
	v_mov_b32_e32 v8, 0
	s_and_saveexec_b32 s2, s1
	s_cbranch_execz .LBB4_40
; %bb.39:                               ;   in Loop: Header=BB4_34 Depth=1
	v_add_co_u32 v7, vcc_lo, v20, s8
	v_add_co_ci_u32_e32 v8, vcc_lo, s9, v21, vcc_lo
	global_load_u16 v7, v[7:8], off
	s_waitcnt vmcnt(0)
	v_dual_mov_b32 v8, s16 :: v_dual_and_b32 v7, 0xffff, v7
.LBB4_40:                               ;   in Loop: Header=BB4_34 Depth=1
	s_or_b32 exec_lo, exec_lo, s2
	v_add_co_u32 v9, vcc_lo, v47, s14
	v_add_co_ci_u32_e32 v10, vcc_lo, s15, v50, vcc_lo
	v_mov_b32_e32 v65, 0
	v_mov_b32_e32 v67, 0
	s_delay_alu instid0(VALU_DEP_3) | instskip(NEXT) | instid1(VALU_DEP_1)
	v_cmp_gt_u64_e64 s2, s[10:11], v[9:10]
	s_and_saveexec_b32 s3, s2
	s_cbranch_execnz .LBB4_55
; %bb.41:                               ;   in Loop: Header=BB4_34 Depth=1
	s_or_b32 exec_lo, exec_lo, s3
	s_and_saveexec_b32 s3, s2
	s_cbranch_execnz .LBB4_56
.LBB4_42:                               ;   in Loop: Header=BB4_34 Depth=1
	s_or_b32 exec_lo, exec_lo, s3
	s_and_saveexec_b32 s3, s2
	s_cbranch_execz .LBB4_44
.LBB4_43:                               ;   in Loop: Header=BB4_34 Depth=1
	v_add_co_u32 v9, vcc_lo, v61, s8
	v_add_co_ci_u32_e32 v10, vcc_lo, s9, v62, vcc_lo
	global_load_u16 v9, v[9:10], off
	s_waitcnt vmcnt(0)
	v_lshl_or_b32 v7, v9, 16, v7
.LBB4_44:                               ;   in Loop: Header=BB4_34 Depth=1
	s_or_b32 exec_lo, exec_lo, s3
	v_add_co_u32 v9, vcc_lo, v51, s14
	v_add_co_ci_u32_e32 v10, vcc_lo, s15, v52, vcc_lo
	v_dual_mov_b32 v64, 0 :: v_dual_mov_b32 v69, 0
	s_delay_alu instid0(VALU_DEP_2) | instskip(NEXT) | instid1(VALU_DEP_1)
	v_cmp_gt_u64_e64 s3, s[10:11], v[9:10]
	s_and_saveexec_b32 s4, s3
	s_cbranch_execnz .LBB4_57
; %bb.45:                               ;   in Loop: Header=BB4_34 Depth=1
	s_or_b32 exec_lo, exec_lo, s4
	s_and_saveexec_b32 s4, s3
	s_cbranch_execnz .LBB4_58
.LBB4_46:                               ;   in Loop: Header=BB4_34 Depth=1
	s_or_b32 exec_lo, exec_lo, s4
	s_and_saveexec_b32 s4, s3
	s_cbranch_execz .LBB4_48
.LBB4_47:                               ;   in Loop: Header=BB4_34 Depth=1
	v_add_co_u32 v9, vcc_lo, v48, s8
	v_add_co_ci_u32_e32 v10, vcc_lo, s9, v49, vcc_lo
	global_load_u16 v9, v[9:10], off
	s_waitcnt vmcnt(0)
	v_or_b32_e32 v8, v9, v8
.LBB4_48:                               ;   in Loop: Header=BB4_34 Depth=1
	s_or_b32 exec_lo, exec_lo, s4
	v_add_co_u32 v9, vcc_lo, v37, s14
	v_add_co_ci_u32_e32 v10, vcc_lo, s15, v38, vcc_lo
	v_dual_mov_b32 v63, 0 :: v_dual_mov_b32 v70, 0
	s_delay_alu instid0(VALU_DEP_2) | instskip(NEXT) | instid1(VALU_DEP_1)
	v_cmp_gt_u64_e64 s4, s[10:11], v[9:10]
	s_and_saveexec_b32 s5, s4
	s_cbranch_execnz .LBB4_59
; %bb.49:                               ;   in Loop: Header=BB4_34 Depth=1
	s_or_b32 exec_lo, exec_lo, s5
	s_and_saveexec_b32 s5, s4
	s_cbranch_execnz .LBB4_60
.LBB4_50:                               ;   in Loop: Header=BB4_34 Depth=1
	s_or_b32 exec_lo, exec_lo, s5
	s_and_saveexec_b32 s5, s4
	s_cbranch_execnz .LBB4_61
.LBB4_51:                               ;   in Loop: Header=BB4_34 Depth=1
	s_or_b32 exec_lo, exec_lo, s5
	s_waitcnt vmcnt(0)
	v_lshlrev_b32_e32 v72, 16, v1
	s_and_not1_b32 vcc_lo, exec_lo, s24
	s_cbranch_vccnz .LBB4_53
.LBB4_52:                               ;   in Loop: Header=BB4_34 Depth=1
	s_load_b32 s5, s[12:13], 0x0
	s_waitcnt lgkmcnt(0)
	v_div_scale_f32 v9, null, s5, s5, v72
	s_delay_alu instid0(VALU_DEP_1) | instskip(SKIP_2) | instid1(VALU_DEP_1)
	v_rcp_f32_e32 v10, v9
	s_waitcnt_depctr 0xfff
	v_fma_f32 v68, -v9, v10, 1.0
	v_fmac_f32_e32 v10, v68, v10
	v_div_scale_f32 v68, vcc_lo, v72, s5, v72
	s_delay_alu instid0(VALU_DEP_1) | instskip(NEXT) | instid1(VALU_DEP_1)
	v_mul_f32_e32 v71, v68, v10
	v_fma_f32 v73, -v9, v71, v68
	s_delay_alu instid0(VALU_DEP_1) | instskip(NEXT) | instid1(VALU_DEP_1)
	v_fmac_f32_e32 v71, v73, v10
	v_fma_f32 v9, -v9, v71, v68
	s_delay_alu instid0(VALU_DEP_1) | instskip(NEXT) | instid1(VALU_DEP_1)
	v_div_fmas_f32 v9, v9, v10, v71
	v_div_fixup_f32 v72, v9, s5, v72
.LBB4_53:                               ;   in Loop: Header=BB4_34 Depth=1
	s_and_not1_b32 vcc_lo, exec_lo, s24
	s_cbranch_vccnz .LBB4_62
; %bb.54:                               ;   in Loop: Header=BB4_34 Depth=1
	s_delay_alu instid0(VALU_DEP_1) | instskip(SKIP_1) | instid1(VALU_DEP_2)
	v_bfe_u32 v1, v72, 16, 1
	v_cmp_o_f32_e32 vcc_lo, v72, v72
	v_add3_u32 v1, v72, v1, 0x7fff
	s_delay_alu instid0(VALU_DEP_1) | instskip(NEXT) | instid1(VALU_DEP_1)
	v_lshrrev_b32_e32 v1, 16, v1
	v_cndmask_b32_e32 v1, 0x7fc0, v1, vcc_lo
	s_delay_alu instid0(VALU_DEP_1)
	v_dual_mov_b32 v10, v2 :: v_dual_mov_b32 v9, v1
	s_branch .LBB4_63
.LBB4_55:                               ;   in Loop: Header=BB4_34 Depth=1
	v_add_co_u32 v9, vcc_lo, v53, s8
	v_add_co_ci_u32_e32 v10, vcc_lo, s9, v54, vcc_lo
	global_load_u16 v63, v[9:10], off
	v_add_co_u32 v9, vcc_lo, v55, s8
	v_add_co_ci_u32_e32 v10, vcc_lo, s9, v56, vcc_lo
	global_load_u16 v67, v[9:10], off
	s_waitcnt vmcnt(1)
	v_lshl_or_b32 v3, v63, 16, v3
	s_or_b32 exec_lo, exec_lo, s3
	s_and_saveexec_b32 s3, s2
	s_cbranch_execz .LBB4_42
.LBB4_56:                               ;   in Loop: Header=BB4_34 Depth=1
	v_add_co_u32 v9, vcc_lo, v57, s8
	v_add_co_ci_u32_e32 v10, vcc_lo, s9, v58, vcc_lo
	global_load_u16 v63, v[9:10], off
	v_add_co_u32 v9, vcc_lo, v59, s8
	v_add_co_ci_u32_e32 v10, vcc_lo, s9, v60, vcc_lo
	global_load_u16 v65, v[9:10], off
	s_waitcnt vmcnt(1)
	v_lshl_or_b32 v5, v63, 16, v5
	s_or_b32 exec_lo, exec_lo, s3
	s_and_saveexec_b32 s3, s2
	s_cbranch_execnz .LBB4_43
	s_branch .LBB4_44
.LBB4_57:                               ;   in Loop: Header=BB4_34 Depth=1
	v_add_co_u32 v9, vcc_lo, v39, s8
	v_add_co_ci_u32_e32 v10, vcc_lo, s9, v40, vcc_lo
	global_load_u16 v63, v[9:10], off
	v_add_co_u32 v9, vcc_lo, v41, s8
	v_add_co_ci_u32_e32 v10, vcc_lo, s9, v42, vcc_lo
	global_load_u16 v69, v[9:10], off
	s_waitcnt vmcnt(1)
	v_or_b32_e32 v4, v63, v4
	s_or_b32 exec_lo, exec_lo, s4
	s_and_saveexec_b32 s4, s3
	s_cbranch_execz .LBB4_46
.LBB4_58:                               ;   in Loop: Header=BB4_34 Depth=1
	v_add_co_u32 v9, vcc_lo, v43, s8
	v_add_co_ci_u32_e32 v10, vcc_lo, s9, v44, vcc_lo
	global_load_u16 v63, v[9:10], off
	v_add_co_u32 v9, vcc_lo, v45, s8
	v_add_co_ci_u32_e32 v10, vcc_lo, s9, v46, vcc_lo
	global_load_u16 v64, v[9:10], off
	s_waitcnt vmcnt(1)
	v_or_b32_e32 v6, v63, v6
	s_or_b32 exec_lo, exec_lo, s4
	s_and_saveexec_b32 s4, s3
	s_cbranch_execnz .LBB4_47
	s_branch .LBB4_48
.LBB4_59:                               ;   in Loop: Header=BB4_34 Depth=1
	v_add_co_u32 v9, vcc_lo, v23, s8
	v_add_co_ci_u32_e32 v10, vcc_lo, s9, v24, vcc_lo
	v_mov_b32_e32 v68, 0
	global_load_d16_hi_b16 v68, v[9:10], off
	v_add_co_u32 v9, vcc_lo, v29, s8
	v_add_co_ci_u32_e32 v10, vcc_lo, s9, v30, vcc_lo
	global_load_u16 v70, v[9:10], off
	s_waitcnt vmcnt(1)
	v_or_b32_e32 v4, v68, v4
	s_or_b32 exec_lo, exec_lo, s5
	s_and_saveexec_b32 s5, s4
	s_cbranch_execz .LBB4_50
.LBB4_60:                               ;   in Loop: Header=BB4_34 Depth=1
	v_add_co_u32 v9, vcc_lo, v31, s8
	v_add_co_ci_u32_e32 v10, vcc_lo, s9, v32, vcc_lo
	v_mov_b32_e32 v68, 0
	global_load_d16_hi_b16 v68, v[9:10], off
	v_add_co_u32 v9, vcc_lo, v33, s8
	v_add_co_ci_u32_e32 v10, vcc_lo, s9, v34, vcc_lo
	global_load_u16 v63, v[9:10], off
	s_waitcnt vmcnt(1)
	v_or_b32_e32 v6, v68, v6
	s_or_b32 exec_lo, exec_lo, s5
	s_and_saveexec_b32 s5, s4
	s_cbranch_execz .LBB4_51
.LBB4_61:                               ;   in Loop: Header=BB4_34 Depth=1
	v_add_co_u32 v9, vcc_lo, v35, s8
	v_add_co_ci_u32_e32 v10, vcc_lo, s9, v36, vcc_lo
	v_mov_b32_e32 v68, 0
	global_load_d16_hi_b16 v68, v[9:10], off
	s_waitcnt vmcnt(0)
	v_or_b32_e32 v8, v68, v8
	s_or_b32 exec_lo, exec_lo, s5
	v_lshlrev_b32_e32 v72, 16, v1
	s_and_not1_b32 vcc_lo, exec_lo, s24
	s_cbranch_vccz .LBB4_52
	s_branch .LBB4_53
.LBB4_62:                               ;   in Loop: Header=BB4_34 Depth=1
	v_dual_mov_b32 v10, s16 :: v_dual_and_b32 v9, 0xffff, v1
.LBB4_63:                               ;   in Loop: Header=BB4_34 Depth=1
	v_lshlrev_b32_e32 v1, 16, v67
	s_and_not1_b32 vcc_lo, exec_lo, s24
	s_delay_alu instid0(VALU_DEP_1) | instskip(NEXT) | instid1(VALU_DEP_1)
	v_or_b32_e32 v1, v9, v1
	v_and_b32_e32 v68, 0xffff0000, v1
	s_cbranch_vccnz .LBB4_65
; %bb.64:                               ;   in Loop: Header=BB4_34 Depth=1
	s_load_b32 s5, s[12:13], 0x0
	s_waitcnt lgkmcnt(0)
	s_delay_alu instid0(VALU_DEP_1) | instskip(NEXT) | instid1(VALU_DEP_1)
	v_div_scale_f32 v9, null, s5, s5, v68
	v_rcp_f32_e32 v67, v9
	s_waitcnt_depctr 0xfff
	v_fma_f32 v71, -v9, v67, 1.0
	s_delay_alu instid0(VALU_DEP_1) | instskip(SKIP_1) | instid1(VALU_DEP_1)
	v_fmac_f32_e32 v67, v71, v67
	v_div_scale_f32 v71, vcc_lo, v68, s5, v68
	v_mul_f32_e32 v73, v71, v67
	s_delay_alu instid0(VALU_DEP_1) | instskip(NEXT) | instid1(VALU_DEP_1)
	v_fma_f32 v74, -v9, v73, v71
	v_fmac_f32_e32 v73, v74, v67
	s_delay_alu instid0(VALU_DEP_1) | instskip(NEXT) | instid1(VALU_DEP_1)
	v_fma_f32 v9, -v9, v73, v71
	v_div_fmas_f32 v9, v9, v67, v73
	s_delay_alu instid0(VALU_DEP_1)
	v_div_fixup_f32 v68, v9, s5, v68
.LBB4_65:                               ;   in Loop: Header=BB4_34 Depth=1
	v_and_b32_e32 v9, 0xffff, v69
	v_lshlrev_b32_e32 v67, 16, v70
	s_and_not1_b32 vcc_lo, exec_lo, s24
	s_delay_alu instid0(VALU_DEP_1)
	v_or3_b32 v9, v67, v9, v10
	v_or3_b32 v10, 0, 0, v1
	s_cbranch_vccnz .LBB4_67
; %bb.66:                               ;   in Loop: Header=BB4_34 Depth=1
	v_bfe_u32 v1, v68, 16, 1
	v_cmp_o_f32_e32 vcc_lo, v68, v68
	s_delay_alu instid0(VALU_DEP_3) | instskip(NEXT) | instid1(VALU_DEP_3)
	v_and_b32_e32 v10, 0xffff, v10
	v_add3_u32 v1, v68, v1, 0x7fff
	s_delay_alu instid0(VALU_DEP_1) | instskip(NEXT) | instid1(VALU_DEP_1)
	v_and_b32_e32 v1, 0xffff0000, v1
	v_cndmask_b32_e32 v1, 0x7fc00000, v1, vcc_lo
	s_delay_alu instid0(VALU_DEP_1)
	v_or_b32_e32 v10, v1, v10
.LBB4_67:                               ;   in Loop: Header=BB4_34 Depth=1
	s_delay_alu instid0(VALU_DEP_1) | instskip(SKIP_1) | instid1(VALU_DEP_1)
	v_alignbit_b32 v1, v9, v10, 16
	s_and_not1_b32 vcc_lo, exec_lo, s24
	v_and_b32_e32 v71, 0xffff0000, v1
	s_cbranch_vccnz .LBB4_69
; %bb.68:                               ;   in Loop: Header=BB4_34 Depth=1
	s_load_b32 s5, s[12:13], 0x0
	s_waitcnt lgkmcnt(0)
	s_delay_alu instid0(VALU_DEP_1) | instskip(NEXT) | instid1(VALU_DEP_1)
	v_div_scale_f32 v1, null, s5, s5, v71
	v_rcp_f32_e32 v67, v1
	s_waitcnt_depctr 0xfff
	v_fma_f32 v69, -v1, v67, 1.0
	s_delay_alu instid0(VALU_DEP_1) | instskip(SKIP_1) | instid1(VALU_DEP_1)
	v_fmac_f32_e32 v67, v69, v67
	v_div_scale_f32 v69, vcc_lo, v71, s5, v71
	v_mul_f32_e32 v70, v69, v67
	s_delay_alu instid0(VALU_DEP_1) | instskip(NEXT) | instid1(VALU_DEP_1)
	v_fma_f32 v73, -v1, v70, v69
	v_fmac_f32_e32 v70, v73, v67
	s_delay_alu instid0(VALU_DEP_1) | instskip(NEXT) | instid1(VALU_DEP_1)
	v_fma_f32 v1, -v1, v70, v69
	v_div_fmas_f32 v1, v1, v67, v70
	s_delay_alu instid0(VALU_DEP_1)
	v_div_fixup_f32 v71, v1, s5, v71
.LBB4_69:                               ;   in Loop: Header=BB4_34 Depth=1
	s_and_not1_b32 vcc_lo, exec_lo, s24
	s_cbranch_vccnz .LBB4_71
; %bb.70:                               ;   in Loop: Header=BB4_34 Depth=1
	s_delay_alu instid0(VALU_DEP_1) | instskip(SKIP_2) | instid1(VALU_DEP_3)
	v_bfe_u32 v1, v71, 16, 1
	v_cmp_o_f32_e32 vcc_lo, v71, v71
	v_and_b32_e32 v9, 0xffff0000, v9
	v_add3_u32 v1, v71, v1, 0x7fff
	s_delay_alu instid0(VALU_DEP_1) | instskip(NEXT) | instid1(VALU_DEP_1)
	v_lshrrev_b32_e32 v1, 16, v1
	v_cndmask_b32_e32 v1, 0x7fc0, v1, vcc_lo
	s_delay_alu instid0(VALU_DEP_1)
	v_or_b32_e32 v9, v1, v9
.LBB4_71:                               ;   in Loop: Header=BB4_34 Depth=1
	s_delay_alu instid0(VALU_DEP_1)
	v_and_b32_e32 v70, 0xffff0000, v9
	s_and_not1_b32 vcc_lo, exec_lo, s24
	s_cbranch_vccnz .LBB4_73
; %bb.72:                               ;   in Loop: Header=BB4_34 Depth=1
	s_load_b32 s5, s[12:13], 0x0
	s_waitcnt lgkmcnt(0)
	v_div_scale_f32 v1, null, s5, s5, v70
	s_delay_alu instid0(VALU_DEP_1) | instskip(SKIP_2) | instid1(VALU_DEP_1)
	v_rcp_f32_e32 v67, v1
	s_waitcnt_depctr 0xfff
	v_fma_f32 v69, -v1, v67, 1.0
	v_fmac_f32_e32 v67, v69, v67
	v_div_scale_f32 v69, vcc_lo, v70, s5, v70
	s_delay_alu instid0(VALU_DEP_1) | instskip(NEXT) | instid1(VALU_DEP_1)
	v_mul_f32_e32 v73, v69, v67
	v_fma_f32 v74, -v1, v73, v69
	s_delay_alu instid0(VALU_DEP_1) | instskip(NEXT) | instid1(VALU_DEP_1)
	v_fmac_f32_e32 v73, v74, v67
	v_fma_f32 v1, -v1, v73, v69
	s_delay_alu instid0(VALU_DEP_1) | instskip(NEXT) | instid1(VALU_DEP_1)
	v_div_fmas_f32 v1, v1, v67, v73
	v_div_fixup_f32 v70, v1, s5, v70
.LBB4_73:                               ;   in Loop: Header=BB4_34 Depth=1
	s_and_not1_b32 vcc_lo, exec_lo, s24
	s_cbranch_vccnz .LBB4_75
; %bb.74:                               ;   in Loop: Header=BB4_34 Depth=1
	s_delay_alu instid0(VALU_DEP_1) | instskip(SKIP_2) | instid1(VALU_DEP_3)
	v_bfe_u32 v1, v70, 16, 1
	v_cmp_o_f32_e32 vcc_lo, v70, v70
	v_and_b32_e32 v9, 0xffff, v9
	v_add3_u32 v1, v70, v1, 0x7fff
	s_delay_alu instid0(VALU_DEP_1) | instskip(NEXT) | instid1(VALU_DEP_1)
	v_and_b32_e32 v1, 0xffff0000, v1
	v_cndmask_b32_e32 v1, 0x7fc00000, v1, vcc_lo
	s_delay_alu instid0(VALU_DEP_1)
	v_or_b32_e32 v9, v1, v9
.LBB4_75:                               ;   in Loop: Header=BB4_34 Depth=1
	v_cndmask_b32_e64 v1, v72, -v72, s28
	v_lshlrev_b32_e32 v69, 16, v66
	v_lshlrev_b32_e32 v73, 16, v5
	s_delay_alu instid0(VALU_DEP_3) | instskip(NEXT) | instid1(VALU_DEP_1)
	v_dual_mul_f32 v67, v1, v1 :: v_dual_lshlrev_b32 v72, 16, v7
	v_fma_f32 v66, -v25, v67, v67
	v_fma_f32 v67, -v26, v1, v1
	s_delay_alu instid0(VALU_DEP_2) | instskip(NEXT) | instid1(VALU_DEP_2)
	v_dual_max_f32 v1, v72, v72 :: v_dual_fmac_f32 v66, v25, v69
	v_fmac_f32_e32 v67, v26, v73
	s_delay_alu instid0(VALU_DEP_2)
	v_max_f32_e32 v1, v1, v66
	s_and_saveexec_b32 s18, s1
	s_cbranch_execz .LBB4_77
; %bb.76:                               ;   in Loop: Header=BB4_34 Depth=1
	s_delay_alu instid0(VALU_DEP_1) | instskip(SKIP_1) | instid1(VALU_DEP_2)
	v_mul_f32_e32 v69, 0x4f800000, v1
	v_cmp_gt_f32_e32 vcc_lo, 0xf800000, v1
	v_cndmask_b32_e32 v69, v1, v69, vcc_lo
	s_delay_alu instid0(VALU_DEP_1) | instskip(SKIP_3) | instid1(VALU_DEP_2)
	v_sqrt_f32_e32 v72, v69
	s_waitcnt_depctr 0xfff
	v_add_nc_u32_e32 v73, -1, v72
	v_add_nc_u32_e32 v74, 1, v72
	v_fma_f32 v75, -v73, v72, v69
	s_delay_alu instid0(VALU_DEP_2) | instskip(NEXT) | instid1(VALU_DEP_2)
	v_fma_f32 v76, -v74, v72, v69
	v_cmp_ge_f32_e64 s5, 0, v75
	s_delay_alu instid0(VALU_DEP_1) | instskip(NEXT) | instid1(VALU_DEP_3)
	v_cndmask_b32_e64 v72, v72, v73, s5
	v_cmp_lt_f32_e64 s5, 0, v76
	s_delay_alu instid0(VALU_DEP_1) | instskip(NEXT) | instid1(VALU_DEP_1)
	v_cndmask_b32_e64 v72, v72, v74, s5
	v_mul_f32_e32 v73, 0x37800000, v72
	s_delay_alu instid0(VALU_DEP_1) | instskip(SKIP_1) | instid1(VALU_DEP_2)
	v_cndmask_b32_e32 v72, v72, v73, vcc_lo
	v_cmp_class_f32_e64 vcc_lo, v69, 0x260
	v_cndmask_b32_e32 v69, v72, v69, vcc_lo
	s_delay_alu instid0(VALU_DEP_1) | instskip(SKIP_1) | instid1(VALU_DEP_2)
	v_div_scale_f32 v72, null, v28, v28, v69
	v_div_scale_f32 v75, vcc_lo, v69, v28, v69
	v_rcp_f32_e32 v73, v72
	s_waitcnt_depctr 0xfff
	v_fma_f32 v74, -v72, v73, 1.0
	s_delay_alu instid0(VALU_DEP_1) | instskip(NEXT) | instid1(VALU_DEP_1)
	v_fmac_f32_e32 v73, v74, v73
	v_mul_f32_e32 v74, v75, v73
	s_delay_alu instid0(VALU_DEP_1) | instskip(NEXT) | instid1(VALU_DEP_1)
	v_fma_f32 v76, -v72, v74, v75
	v_fmac_f32_e32 v74, v76, v73
	s_delay_alu instid0(VALU_DEP_1) | instskip(NEXT) | instid1(VALU_DEP_1)
	v_fma_f32 v72, -v72, v74, v75
	v_div_fmas_f32 v72, v72, v73, v74
	s_delay_alu instid0(VALU_DEP_1) | instskip(SKIP_1) | instid1(VALU_DEP_2)
	v_div_fixup_f32 v69, v72, v28, v69
	v_mul_f32_e32 v72, v22, v67
	v_add_f32_e32 v69, v69, v27
	s_delay_alu instid0(VALU_DEP_1) | instskip(SKIP_1) | instid1(VALU_DEP_2)
	v_div_scale_f32 v73, null, v69, v69, v72
	v_div_scale_f32 v76, vcc_lo, v72, v69, v72
	v_rcp_f32_e32 v74, v73
	s_waitcnt_depctr 0xfff
	v_fma_f32 v75, -v73, v74, 1.0
	s_delay_alu instid0(VALU_DEP_1) | instskip(NEXT) | instid1(VALU_DEP_1)
	v_fmac_f32_e32 v74, v75, v74
	v_mul_f32_e32 v75, v76, v74
	s_delay_alu instid0(VALU_DEP_1) | instskip(NEXT) | instid1(VALU_DEP_1)
	v_fma_f32 v77, -v73, v75, v76
	v_fmac_f32_e32 v75, v77, v74
	v_lshlrev_b32_e32 v77, 16, v3
	s_delay_alu instid0(VALU_DEP_2) | instskip(NEXT) | instid1(VALU_DEP_2)
	v_fma_f32 v73, -v73, v75, v76
	v_fma_f32 v76, -v11, v77, v77
	s_delay_alu instid0(VALU_DEP_2) | instskip(NEXT) | instid1(VALU_DEP_2)
	v_div_fmas_f32 v73, v73, v74, v75
	v_cndmask_b32_e64 v74, v77, v76, s0
	s_delay_alu instid0(VALU_DEP_2) | instskip(NEXT) | instid1(VALU_DEP_1)
	v_div_fixup_f32 v69, v73, v69, v72
	v_sub_f32_e32 v69, v74, v69
	s_delay_alu instid0(VALU_DEP_1) | instskip(SKIP_1) | instid1(VALU_DEP_2)
	v_bfe_u32 v72, v69, 16, 1
	v_cmp_o_f32_e32 vcc_lo, v69, v69
	v_add3_u32 v72, v69, v72, 0x7fff
	s_delay_alu instid0(VALU_DEP_1) | instskip(NEXT) | instid1(VALU_DEP_1)
	v_lshrrev_b32_e32 v72, 16, v72
	v_cndmask_b32_e32 v69, 0x7fc0, v72, vcc_lo
	v_add_co_u32 v72, vcc_lo, v12, s8
	v_add_co_ci_u32_e32 v73, vcc_lo, s9, v13, vcc_lo
	global_store_b16 v[72:73], v69, off
.LBB4_77:                               ;   in Loop: Header=BB4_34 Depth=1
	s_or_b32 exec_lo, exec_lo, s18
	v_cndmask_b32_e64 v69, v68, -v68, s28
	v_and_b32_e32 v73, 0xffff0000, v5
	v_and_b32_e32 v72, 0xffff0000, v7
	v_lshlrev_b32_e32 v65, 16, v65
	s_delay_alu instid0(VALU_DEP_4) | instskip(SKIP_1) | instid1(VALU_DEP_2)
	v_mul_f32_e32 v68, v69, v69
	v_fma_f32 v69, -v26, v69, v69
	v_fma_f32 v68, -v25, v68, v68
	s_delay_alu instid0(VALU_DEP_2) | instskip(NEXT) | instid1(VALU_DEP_2)
	v_fmac_f32_e32 v69, v26, v73
	v_dual_fmac_f32 v68, v25, v65 :: v_dual_max_f32 v65, v72, v72
	s_delay_alu instid0(VALU_DEP_1)
	v_max_f32_e32 v65, v65, v68
	s_and_saveexec_b32 s18, s2
	s_cbranch_execz .LBB4_79
; %bb.78:                               ;   in Loop: Header=BB4_34 Depth=1
	s_delay_alu instid0(VALU_DEP_1) | instskip(SKIP_1) | instid1(VALU_DEP_1)
	v_cmp_gt_f32_e32 vcc_lo, 0xf800000, v65
	v_mul_f32_e32 v72, 0x4f800000, v65
	v_cndmask_b32_e32 v72, v65, v72, vcc_lo
	s_delay_alu instid0(VALU_DEP_1) | instskip(SKIP_3) | instid1(VALU_DEP_2)
	v_sqrt_f32_e32 v73, v72
	s_waitcnt_depctr 0xfff
	v_add_nc_u32_e32 v75, 1, v73
	v_add_nc_u32_e32 v74, -1, v73
	v_fma_f32 v77, -v75, v73, v72
	s_delay_alu instid0(VALU_DEP_2) | instskip(NEXT) | instid1(VALU_DEP_1)
	v_fma_f32 v76, -v74, v73, v72
	v_cmp_ge_f32_e64 s5, 0, v76
	s_delay_alu instid0(VALU_DEP_1) | instskip(NEXT) | instid1(VALU_DEP_4)
	v_cndmask_b32_e64 v73, v73, v74, s5
	v_cmp_lt_f32_e64 s5, 0, v77
	s_delay_alu instid0(VALU_DEP_1) | instskip(NEXT) | instid1(VALU_DEP_1)
	v_cndmask_b32_e64 v73, v73, v75, s5
	v_mul_f32_e32 v74, 0x37800000, v73
	s_delay_alu instid0(VALU_DEP_1) | instskip(SKIP_1) | instid1(VALU_DEP_2)
	v_cndmask_b32_e32 v73, v73, v74, vcc_lo
	v_cmp_class_f32_e64 vcc_lo, v72, 0x260
	v_cndmask_b32_e32 v72, v73, v72, vcc_lo
	s_delay_alu instid0(VALU_DEP_1) | instskip(SKIP_1) | instid1(VALU_DEP_2)
	v_div_scale_f32 v73, null, v28, v28, v72
	v_div_scale_f32 v76, vcc_lo, v72, v28, v72
	v_rcp_f32_e32 v74, v73
	s_waitcnt_depctr 0xfff
	v_fma_f32 v75, -v73, v74, 1.0
	s_delay_alu instid0(VALU_DEP_1) | instskip(NEXT) | instid1(VALU_DEP_1)
	v_fmac_f32_e32 v74, v75, v74
	v_mul_f32_e32 v75, v76, v74
	s_delay_alu instid0(VALU_DEP_1) | instskip(NEXT) | instid1(VALU_DEP_1)
	v_fma_f32 v77, -v73, v75, v76
	v_fmac_f32_e32 v75, v77, v74
	s_delay_alu instid0(VALU_DEP_1) | instskip(NEXT) | instid1(VALU_DEP_1)
	v_fma_f32 v73, -v73, v75, v76
	v_div_fmas_f32 v73, v73, v74, v75
	s_delay_alu instid0(VALU_DEP_1) | instskip(NEXT) | instid1(VALU_DEP_1)
	v_div_fixup_f32 v72, v73, v28, v72
	v_dual_mul_f32 v73, v22, v69 :: v_dual_add_f32 v72, v72, v27
	s_delay_alu instid0(VALU_DEP_1) | instskip(SKIP_1) | instid1(VALU_DEP_2)
	v_div_scale_f32 v74, null, v72, v72, v73
	v_div_scale_f32 v77, vcc_lo, v73, v72, v73
	v_rcp_f32_e32 v75, v74
	s_waitcnt_depctr 0xfff
	v_fma_f32 v76, -v74, v75, 1.0
	s_delay_alu instid0(VALU_DEP_1) | instskip(NEXT) | instid1(VALU_DEP_1)
	v_fmac_f32_e32 v75, v76, v75
	v_mul_f32_e32 v76, v77, v75
	s_delay_alu instid0(VALU_DEP_1) | instskip(NEXT) | instid1(VALU_DEP_1)
	v_fma_f32 v78, -v74, v76, v77
	v_fmac_f32_e32 v76, v78, v75
	v_and_b32_e32 v78, 0xffff0000, v3
	s_delay_alu instid0(VALU_DEP_2) | instskip(NEXT) | instid1(VALU_DEP_2)
	v_fma_f32 v74, -v74, v76, v77
	v_fma_f32 v77, -v11, v78, v78
	s_delay_alu instid0(VALU_DEP_2) | instskip(NEXT) | instid1(VALU_DEP_2)
	v_div_fmas_f32 v74, v74, v75, v76
	v_cndmask_b32_e64 v75, v78, v77, s0
	s_delay_alu instid0(VALU_DEP_2) | instskip(NEXT) | instid1(VALU_DEP_1)
	v_div_fixup_f32 v72, v74, v72, v73
	v_sub_f32_e32 v72, v75, v72
	s_delay_alu instid0(VALU_DEP_1) | instskip(SKIP_1) | instid1(VALU_DEP_2)
	v_bfe_u32 v73, v72, 16, 1
	v_cmp_o_f32_e32 vcc_lo, v72, v72
	v_add3_u32 v73, v72, v73, 0x7fff
	s_delay_alu instid0(VALU_DEP_1) | instskip(NEXT) | instid1(VALU_DEP_1)
	v_lshrrev_b32_e32 v73, 16, v73
	v_cndmask_b32_e32 v74, 0x7fc0, v73, vcc_lo
	v_add_co_u32 v72, vcc_lo, v53, s8
	v_add_co_ci_u32_e32 v73, vcc_lo, s9, v54, vcc_lo
	global_store_b16 v[72:73], v74, off
.LBB4_79:                               ;   in Loop: Header=BB4_34 Depth=1
	s_or_b32 exec_lo, exec_lo, s18
	v_cndmask_b32_e64 v71, v71, -v71, s28
	v_alignbit_b32 v73, v8, v7, 16
	v_alignbit_b32 v5, v6, v5, 16
	v_lshlrev_b32_e32 v74, 16, v64
	s_delay_alu instid0(VALU_DEP_4) | instskip(SKIP_1) | instid1(VALU_DEP_4)
	v_mul_f32_e32 v72, v71, v71
	v_fma_f32 v64, -v26, v71, v71
	v_and_b32_e32 v5, 0xffff0000, v5
	s_delay_alu instid0(VALU_DEP_3) | instskip(SKIP_1) | instid1(VALU_DEP_2)
	v_fma_f32 v7, -v25, v72, v72
	v_and_b32_e32 v72, 0xffff0000, v73
	v_dual_fmac_f32 v64, v26, v5 :: v_dual_fmac_f32 v7, v25, v74
	s_delay_alu instid0(VALU_DEP_2) | instskip(NEXT) | instid1(VALU_DEP_1)
	v_max_f32_e32 v71, v72, v72
	v_max_f32_e32 v5, v71, v7
	s_and_saveexec_b32 s18, s3
	s_cbranch_execz .LBB4_81
; %bb.80:                               ;   in Loop: Header=BB4_34 Depth=1
	s_delay_alu instid0(VALU_DEP_1) | instskip(SKIP_2) | instid1(VALU_DEP_3)
	v_mul_f32_e32 v71, 0x4f800000, v5
	v_cmp_gt_f32_e32 vcc_lo, 0xf800000, v5
	v_alignbit_b32 v3, v4, v3, 16
	v_cndmask_b32_e32 v71, v5, v71, vcc_lo
	s_delay_alu instid0(VALU_DEP_2) | instskip(NEXT) | instid1(VALU_DEP_2)
	v_and_b32_e32 v3, 0xffff0000, v3
	v_sqrt_f32_e32 v72, v71
	s_waitcnt_depctr 0xfff
	v_add_nc_u32_e32 v73, -1, v72
	v_add_nc_u32_e32 v74, 1, v72
	s_delay_alu instid0(VALU_DEP_2) | instskip(NEXT) | instid1(VALU_DEP_2)
	v_fma_f32 v75, -v73, v72, v71
	v_fma_f32 v76, -v74, v72, v71
	s_delay_alu instid0(VALU_DEP_2) | instskip(NEXT) | instid1(VALU_DEP_1)
	v_cmp_ge_f32_e64 s5, 0, v75
	v_cndmask_b32_e64 v72, v72, v73, s5
	s_delay_alu instid0(VALU_DEP_3) | instskip(NEXT) | instid1(VALU_DEP_1)
	v_cmp_lt_f32_e64 s5, 0, v76
	v_cndmask_b32_e64 v72, v72, v74, s5
	s_delay_alu instid0(VALU_DEP_1) | instskip(NEXT) | instid1(VALU_DEP_1)
	v_mul_f32_e32 v73, 0x37800000, v72
	v_cndmask_b32_e32 v72, v72, v73, vcc_lo
	v_cmp_class_f32_e64 vcc_lo, v71, 0x260
	s_delay_alu instid0(VALU_DEP_2) | instskip(NEXT) | instid1(VALU_DEP_1)
	v_cndmask_b32_e32 v71, v72, v71, vcc_lo
	v_div_scale_f32 v72, null, v28, v28, v71
	v_div_scale_f32 v75, vcc_lo, v71, v28, v71
	s_delay_alu instid0(VALU_DEP_2) | instskip(SKIP_2) | instid1(VALU_DEP_1)
	v_rcp_f32_e32 v73, v72
	s_waitcnt_depctr 0xfff
	v_fma_f32 v74, -v72, v73, 1.0
	v_fmac_f32_e32 v73, v74, v73
	s_delay_alu instid0(VALU_DEP_1) | instskip(NEXT) | instid1(VALU_DEP_1)
	v_mul_f32_e32 v74, v75, v73
	v_fma_f32 v76, -v72, v74, v75
	s_delay_alu instid0(VALU_DEP_1) | instskip(NEXT) | instid1(VALU_DEP_1)
	v_fmac_f32_e32 v74, v76, v73
	v_fma_f32 v72, -v72, v74, v75
	s_delay_alu instid0(VALU_DEP_1) | instskip(NEXT) | instid1(VALU_DEP_1)
	v_div_fmas_f32 v72, v72, v73, v74
	v_div_fixup_f32 v71, v72, v28, v71
	s_delay_alu instid0(VALU_DEP_1) | instskip(NEXT) | instid1(VALU_DEP_1)
	v_dual_mul_f32 v72, v22, v64 :: v_dual_add_f32 v71, v71, v27
	v_div_scale_f32 v73, null, v71, v71, v72
	v_div_scale_f32 v76, vcc_lo, v72, v71, v72
	s_delay_alu instid0(VALU_DEP_2) | instskip(SKIP_2) | instid1(VALU_DEP_1)
	v_rcp_f32_e32 v74, v73
	s_waitcnt_depctr 0xfff
	v_fma_f32 v75, -v73, v74, 1.0
	v_fmac_f32_e32 v74, v75, v74
	s_delay_alu instid0(VALU_DEP_1) | instskip(NEXT) | instid1(VALU_DEP_1)
	v_mul_f32_e32 v75, v76, v74
	v_fma_f32 v77, -v73, v75, v76
	s_delay_alu instid0(VALU_DEP_1) | instskip(NEXT) | instid1(VALU_DEP_1)
	v_fmac_f32_e32 v75, v77, v74
	v_fma_f32 v73, -v73, v75, v76
	v_fma_f32 v76, -v11, v3, v3
	s_delay_alu instid0(VALU_DEP_2) | instskip(NEXT) | instid1(VALU_DEP_2)
	v_div_fmas_f32 v73, v73, v74, v75
	v_cndmask_b32_e64 v3, v3, v76, s0
	s_delay_alu instid0(VALU_DEP_2) | instskip(NEXT) | instid1(VALU_DEP_1)
	v_div_fixup_f32 v71, v73, v71, v72
	v_sub_f32_e32 v3, v3, v71
	s_delay_alu instid0(VALU_DEP_1) | instskip(SKIP_1) | instid1(VALU_DEP_2)
	v_bfe_u32 v71, v3, 16, 1
	v_cmp_o_f32_e32 vcc_lo, v3, v3
	v_add3_u32 v71, v3, v71, 0x7fff
	s_delay_alu instid0(VALU_DEP_1) | instskip(NEXT) | instid1(VALU_DEP_1)
	v_lshrrev_b32_e32 v71, 16, v71
	v_cndmask_b32_e32 v3, 0x7fc0, v71, vcc_lo
	v_add_co_u32 v71, vcc_lo, v39, s8
	v_add_co_ci_u32_e32 v72, vcc_lo, s9, v40, vcc_lo
	global_store_b16 v[71:72], v3, off
.LBB4_81:                               ;   in Loop: Header=BB4_34 Depth=1
	s_or_b32 exec_lo, exec_lo, s18
	v_cndmask_b32_e64 v3, v70, -v70, s28
	v_lshlrev_b32_e32 v71, 16, v63
	v_and_b32_e32 v8, 0xffff0000, v8
	s_delay_alu instid0(VALU_DEP_3) | instskip(NEXT) | instid1(VALU_DEP_1)
	v_mul_f32_e32 v70, v3, v3
	v_fma_f32 v63, -v25, v70, v70
	v_and_b32_e32 v70, 0xffff0000, v6
	v_fma_f32 v6, -v26, v3, v3
	s_delay_alu instid0(VALU_DEP_1) | instskip(SKIP_1) | instid1(VALU_DEP_1)
	v_dual_fmac_f32 v6, v26, v70 :: v_dual_fmac_f32 v63, v25, v71
	v_max_f32_e32 v3, v8, v8
	v_max_f32_e32 v3, v3, v63
	s_and_saveexec_b32 s18, s4
	s_cbranch_execz .LBB4_83
; %bb.82:                               ;   in Loop: Header=BB4_34 Depth=1
	s_delay_alu instid0(VALU_DEP_1) | instskip(SKIP_2) | instid1(VALU_DEP_3)
	v_mul_f32_e32 v8, 0x4f800000, v3
	v_cmp_gt_f32_e32 vcc_lo, 0xf800000, v3
	v_and_b32_e32 v4, 0xffff0000, v4
	v_cndmask_b32_e32 v8, v3, v8, vcc_lo
	s_delay_alu instid0(VALU_DEP_1) | instskip(SKIP_3) | instid1(VALU_DEP_2)
	v_sqrt_f32_e32 v70, v8
	s_waitcnt_depctr 0xfff
	v_add_nc_u32_e32 v71, -1, v70
	v_add_nc_u32_e32 v72, 1, v70
	v_fma_f32 v73, -v71, v70, v8
	s_delay_alu instid0(VALU_DEP_2) | instskip(NEXT) | instid1(VALU_DEP_2)
	v_fma_f32 v74, -v72, v70, v8
	v_cmp_ge_f32_e64 s5, 0, v73
	s_delay_alu instid0(VALU_DEP_1) | instskip(NEXT) | instid1(VALU_DEP_3)
	v_cndmask_b32_e64 v70, v70, v71, s5
	v_cmp_lt_f32_e64 s5, 0, v74
	s_delay_alu instid0(VALU_DEP_1) | instskip(NEXT) | instid1(VALU_DEP_1)
	v_cndmask_b32_e64 v70, v70, v72, s5
	v_mul_f32_e32 v71, 0x37800000, v70
	s_delay_alu instid0(VALU_DEP_1) | instskip(SKIP_1) | instid1(VALU_DEP_2)
	v_cndmask_b32_e32 v70, v70, v71, vcc_lo
	v_cmp_class_f32_e64 vcc_lo, v8, 0x260
	v_cndmask_b32_e32 v8, v70, v8, vcc_lo
	s_delay_alu instid0(VALU_DEP_1) | instskip(NEXT) | instid1(VALU_DEP_1)
	v_div_scale_f32 v70, null, v28, v28, v8
	v_rcp_f32_e32 v71, v70
	s_waitcnt_depctr 0xfff
	v_fma_f32 v72, -v70, v71, 1.0
	s_delay_alu instid0(VALU_DEP_1) | instskip(SKIP_1) | instid1(VALU_DEP_1)
	v_fmac_f32_e32 v71, v72, v71
	v_div_scale_f32 v73, vcc_lo, v8, v28, v8
	v_mul_f32_e32 v72, v73, v71
	s_delay_alu instid0(VALU_DEP_1) | instskip(NEXT) | instid1(VALU_DEP_1)
	v_fma_f32 v74, -v70, v72, v73
	v_fmac_f32_e32 v72, v74, v71
	s_delay_alu instid0(VALU_DEP_1) | instskip(NEXT) | instid1(VALU_DEP_1)
	v_fma_f32 v70, -v70, v72, v73
	v_div_fmas_f32 v70, v70, v71, v72
	s_delay_alu instid0(VALU_DEP_1) | instskip(SKIP_1) | instid1(VALU_DEP_2)
	v_div_fixup_f32 v8, v70, v28, v8
	v_mul_f32_e32 v70, v22, v6
	v_add_f32_e32 v8, v8, v27
	s_delay_alu instid0(VALU_DEP_1) | instskip(SKIP_1) | instid1(VALU_DEP_2)
	v_div_scale_f32 v71, null, v8, v8, v70
	v_div_scale_f32 v74, vcc_lo, v70, v8, v70
	v_rcp_f32_e32 v72, v71
	s_waitcnt_depctr 0xfff
	v_fma_f32 v73, -v71, v72, 1.0
	s_delay_alu instid0(VALU_DEP_1) | instskip(NEXT) | instid1(VALU_DEP_1)
	v_fmac_f32_e32 v72, v73, v72
	v_mul_f32_e32 v73, v74, v72
	s_delay_alu instid0(VALU_DEP_1) | instskip(NEXT) | instid1(VALU_DEP_1)
	v_fma_f32 v75, -v71, v73, v74
	v_fmac_f32_e32 v73, v75, v72
	s_delay_alu instid0(VALU_DEP_1) | instskip(SKIP_1) | instid1(VALU_DEP_2)
	v_fma_f32 v71, -v71, v73, v74
	v_fma_f32 v74, -v11, v4, v4
	v_div_fmas_f32 v71, v71, v72, v73
	s_delay_alu instid0(VALU_DEP_2) | instskip(NEXT) | instid1(VALU_DEP_2)
	v_cndmask_b32_e64 v4, v4, v74, s0
	v_div_fixup_f32 v8, v71, v8, v70
	s_delay_alu instid0(VALU_DEP_1) | instskip(NEXT) | instid1(VALU_DEP_1)
	v_sub_f32_e32 v4, v4, v8
	v_bfe_u32 v8, v4, 16, 1
	v_cmp_o_f32_e32 vcc_lo, v4, v4
	s_delay_alu instid0(VALU_DEP_2) | instskip(NEXT) | instid1(VALU_DEP_1)
	v_add3_u32 v8, v4, v8, 0x7fff
	v_lshrrev_b32_e32 v8, 16, v8
	s_delay_alu instid0(VALU_DEP_1)
	v_cndmask_b32_e32 v4, 0x7fc0, v8, vcc_lo
	v_add_co_u32 v70, vcc_lo, v23, s8
	v_add_co_ci_u32_e32 v71, vcc_lo, s9, v24, vcc_lo
	global_store_b16 v[70:71], v4, off
.LBB4_83:                               ;   in Loop: Header=BB4_34 Depth=1
	s_or_b32 exec_lo, exec_lo, s18
	s_delay_alu instid0(SALU_CYCLE_1)
	s_and_not1_b32 vcc_lo, exec_lo, s24
	s_cbranch_vccnz .LBB4_90
; %bb.84:                               ;   in Loop: Header=BB4_34 Depth=1
	s_and_saveexec_b32 s5, s1
	s_cbranch_execnz .LBB4_114
; %bb.85:                               ;   in Loop: Header=BB4_34 Depth=1
	s_or_b32 exec_lo, exec_lo, s5
	s_and_saveexec_b32 s5, s2
	s_cbranch_execnz .LBB4_115
.LBB4_86:                               ;   in Loop: Header=BB4_34 Depth=1
	s_or_b32 exec_lo, exec_lo, s5
	s_and_saveexec_b32 s5, s3
	s_cbranch_execnz .LBB4_116
.LBB4_87:                               ;   in Loop: Header=BB4_34 Depth=1
	s_or_b32 exec_lo, exec_lo, s5
	s_and_saveexec_b32 s5, s4
	s_cbranch_execz .LBB4_89
.LBB4_88:                               ;   in Loop: Header=BB4_34 Depth=1
	v_add_co_u32 v70, vcc_lo, v29, s8
	v_add_co_ci_u32_e32 v71, vcc_lo, s9, v30, vcc_lo
	global_store_d16_hi_b16 v[70:71], v9, off
.LBB4_89:                               ;   in Loop: Header=BB4_34 Depth=1
	s_or_b32 exec_lo, exec_lo, s5
.LBB4_90:                               ;   in Loop: Header=BB4_34 Depth=1
	s_and_saveexec_b32 s5, s1
	s_cbranch_execnz .LBB4_102
; %bb.91:                               ;   in Loop: Header=BB4_34 Depth=1
	s_or_b32 exec_lo, exec_lo, s5
	s_and_saveexec_b32 s5, s2
	s_cbranch_execnz .LBB4_103
.LBB4_92:                               ;   in Loop: Header=BB4_34 Depth=1
	s_or_b32 exec_lo, exec_lo, s5
	s_and_saveexec_b32 s5, s3
	s_cbranch_execnz .LBB4_104
.LBB4_93:                               ;   in Loop: Header=BB4_34 Depth=1
	s_or_b32 exec_lo, exec_lo, s5
	s_and_saveexec_b32 s5, s4
	s_cbranch_execnz .LBB4_105
.LBB4_94:                               ;   in Loop: Header=BB4_34 Depth=1
	s_or_b32 exec_lo, exec_lo, s5
	s_and_saveexec_b32 s5, s1
	s_cbranch_execnz .LBB4_106
.LBB4_95:                               ;   in Loop: Header=BB4_34 Depth=1
	s_or_b32 exec_lo, exec_lo, s5
	s_and_saveexec_b32 s5, s2
	s_cbranch_execnz .LBB4_107
.LBB4_96:                               ;   in Loop: Header=BB4_34 Depth=1
	s_or_b32 exec_lo, exec_lo, s5
	s_and_saveexec_b32 s5, s3
	s_cbranch_execnz .LBB4_108
.LBB4_97:                               ;   in Loop: Header=BB4_34 Depth=1
	s_or_b32 exec_lo, exec_lo, s5
	s_and_saveexec_b32 s5, s4
	s_cbranch_execnz .LBB4_109
.LBB4_98:                               ;   in Loop: Header=BB4_34 Depth=1
	s_or_b32 exec_lo, exec_lo, s5
	s_and_saveexec_b32 s5, s1
	s_cbranch_execnz .LBB4_110
.LBB4_99:                               ;   in Loop: Header=BB4_34 Depth=1
	s_or_b32 exec_lo, exec_lo, s5
	s_and_saveexec_b32 s1, s2
	s_cbranch_execnz .LBB4_111
.LBB4_100:                              ;   in Loop: Header=BB4_34 Depth=1
	s_or_b32 exec_lo, exec_lo, s1
	s_and_saveexec_b32 s1, s3
	s_cbranch_execnz .LBB4_112
.LBB4_101:                              ;   in Loop: Header=BB4_34 Depth=1
	s_or_b32 exec_lo, exec_lo, s1
	s_and_saveexec_b32 s1, s4
	s_cbranch_execz .LBB4_33
	s_branch .LBB4_113
.LBB4_102:                              ;   in Loop: Header=BB4_34 Depth=1
	v_bfe_u32 v4, v67, 16, 1
	v_cmp_o_f32_e32 vcc_lo, v67, v67
	s_delay_alu instid0(VALU_DEP_2) | instskip(NEXT) | instid1(VALU_DEP_1)
	v_add3_u32 v4, v67, v4, 0x7fff
	v_lshrrev_b32_e32 v4, 16, v4
	s_delay_alu instid0(VALU_DEP_1)
	v_cndmask_b32_e32 v4, 0x7fc0, v4, vcc_lo
	v_add_co_u32 v8, vcc_lo, v16, s8
	v_add_co_ci_u32_e32 v9, vcc_lo, s9, v17, vcc_lo
	global_store_b16 v[8:9], v4, off
	s_or_b32 exec_lo, exec_lo, s5
	s_and_saveexec_b32 s5, s2
	s_cbranch_execz .LBB4_92
.LBB4_103:                              ;   in Loop: Header=BB4_34 Depth=1
	v_bfe_u32 v4, v69, 16, 1
	v_cmp_o_f32_e32 vcc_lo, v69, v69
	s_delay_alu instid0(VALU_DEP_2) | instskip(NEXT) | instid1(VALU_DEP_1)
	v_add3_u32 v4, v69, v4, 0x7fff
	v_lshrrev_b32_e32 v4, 16, v4
	s_delay_alu instid0(VALU_DEP_1)
	v_cndmask_b32_e32 v4, 0x7fc0, v4, vcc_lo
	v_add_co_u32 v8, vcc_lo, v57, s8
	v_add_co_ci_u32_e32 v9, vcc_lo, s9, v58, vcc_lo
	global_store_b16 v[8:9], v4, off
	s_or_b32 exec_lo, exec_lo, s5
	s_and_saveexec_b32 s5, s3
	s_cbranch_execz .LBB4_93
.LBB4_104:                              ;   in Loop: Header=BB4_34 Depth=1
	v_bfe_u32 v4, v64, 16, 1
	v_cmp_o_f32_e32 vcc_lo, v64, v64
	s_delay_alu instid0(VALU_DEP_2) | instskip(NEXT) | instid1(VALU_DEP_1)
	v_add3_u32 v4, v64, v4, 0x7fff
	v_lshrrev_b32_e32 v4, 16, v4
	s_delay_alu instid0(VALU_DEP_1)
	v_cndmask_b32_e32 v4, 0x7fc0, v4, vcc_lo
	v_add_co_u32 v8, vcc_lo, v43, s8
	v_add_co_ci_u32_e32 v9, vcc_lo, s9, v44, vcc_lo
	global_store_b16 v[8:9], v4, off
	s_or_b32 exec_lo, exec_lo, s5
	s_and_saveexec_b32 s5, s4
	s_cbranch_execz .LBB4_94
.LBB4_105:                              ;   in Loop: Header=BB4_34 Depth=1
	v_bfe_u32 v4, v6, 16, 1
	v_cmp_o_f32_e32 vcc_lo, v6, v6
	s_delay_alu instid0(VALU_DEP_2) | instskip(NEXT) | instid1(VALU_DEP_1)
	v_add3_u32 v4, v6, v4, 0x7fff
	v_lshrrev_b32_e32 v4, 16, v4
	s_delay_alu instid0(VALU_DEP_1)
	v_cndmask_b32_e32 v4, 0x7fc0, v4, vcc_lo
	v_add_co_u32 v8, vcc_lo, v31, s8
	v_add_co_ci_u32_e32 v9, vcc_lo, s9, v32, vcc_lo
	global_store_b16 v[8:9], v4, off
	s_or_b32 exec_lo, exec_lo, s5
	s_and_saveexec_b32 s5, s1
	s_cbranch_execz .LBB4_95
.LBB4_106:                              ;   in Loop: Header=BB4_34 Depth=1
	v_bfe_u32 v4, v66, 16, 1
	v_cmp_o_f32_e32 vcc_lo, v66, v66
	s_delay_alu instid0(VALU_DEP_2) | instskip(NEXT) | instid1(VALU_DEP_1)
	v_add3_u32 v4, v66, v4, 0x7fff
	v_lshrrev_b32_e32 v4, 16, v4
	s_delay_alu instid0(VALU_DEP_1)
	v_cndmask_b32_e32 v4, 0x7fc0, v4, vcc_lo
	v_add_co_u32 v8, vcc_lo, v18, s8
	v_add_co_ci_u32_e32 v9, vcc_lo, s9, v19, vcc_lo
	global_store_b16 v[8:9], v4, off
	s_or_b32 exec_lo, exec_lo, s5
	s_and_saveexec_b32 s5, s2
	s_cbranch_execz .LBB4_96
.LBB4_107:                              ;   in Loop: Header=BB4_34 Depth=1
	v_bfe_u32 v4, v68, 16, 1
	v_cmp_o_f32_e32 vcc_lo, v68, v68
	s_delay_alu instid0(VALU_DEP_2) | instskip(NEXT) | instid1(VALU_DEP_1)
	v_add3_u32 v4, v68, v4, 0x7fff
	v_lshrrev_b32_e32 v4, 16, v4
	s_delay_alu instid0(VALU_DEP_1)
	v_cndmask_b32_e32 v4, 0x7fc0, v4, vcc_lo
	v_add_co_u32 v8, vcc_lo, v59, s8
	v_add_co_ci_u32_e32 v9, vcc_lo, s9, v60, vcc_lo
	global_store_b16 v[8:9], v4, off
	s_or_b32 exec_lo, exec_lo, s5
	s_and_saveexec_b32 s5, s3
	s_cbranch_execz .LBB4_97
.LBB4_108:                              ;   in Loop: Header=BB4_34 Depth=1
	v_bfe_u32 v4, v7, 16, 1
	v_cmp_o_f32_e32 vcc_lo, v7, v7
	s_delay_alu instid0(VALU_DEP_2) | instskip(NEXT) | instid1(VALU_DEP_1)
	v_add3_u32 v4, v7, v4, 0x7fff
	v_lshrrev_b32_e32 v4, 16, v4
	s_delay_alu instid0(VALU_DEP_1)
	v_cndmask_b32_e32 v4, 0x7fc0, v4, vcc_lo
	v_add_co_u32 v6, vcc_lo, v45, s8
	v_add_co_ci_u32_e32 v7, vcc_lo, s9, v46, vcc_lo
	global_store_b16 v[6:7], v4, off
	s_or_b32 exec_lo, exec_lo, s5
	s_and_saveexec_b32 s5, s4
	s_cbranch_execz .LBB4_98
.LBB4_109:                              ;   in Loop: Header=BB4_34 Depth=1
	v_bfe_u32 v4, v63, 16, 1
	v_cmp_o_f32_e32 vcc_lo, v63, v63
	s_delay_alu instid0(VALU_DEP_2) | instskip(NEXT) | instid1(VALU_DEP_1)
	v_add3_u32 v4, v63, v4, 0x7fff
	v_lshrrev_b32_e32 v4, 16, v4
	s_delay_alu instid0(VALU_DEP_1)
	v_cndmask_b32_e32 v4, 0x7fc0, v4, vcc_lo
	v_add_co_u32 v6, vcc_lo, v33, s8
	v_add_co_ci_u32_e32 v7, vcc_lo, s9, v34, vcc_lo
	global_store_b16 v[6:7], v4, off
	s_or_b32 exec_lo, exec_lo, s5
	s_and_saveexec_b32 s5, s1
	s_cbranch_execz .LBB4_99
.LBB4_110:                              ;   in Loop: Header=BB4_34 Depth=1
	v_bfe_u32 v4, v1, 16, 1
	v_cmp_o_f32_e32 vcc_lo, v1, v1
	s_delay_alu instid0(VALU_DEP_2) | instskip(NEXT) | instid1(VALU_DEP_1)
	v_add3_u32 v4, v1, v4, 0x7fff
	v_lshrrev_b32_e32 v4, 16, v4
	s_delay_alu instid0(VALU_DEP_1)
	v_cndmask_b32_e32 v1, 0x7fc0, v4, vcc_lo
	v_add_co_u32 v6, vcc_lo, v20, s8
	v_add_co_ci_u32_e32 v7, vcc_lo, s9, v21, vcc_lo
	global_store_b16 v[6:7], v1, off
	s_or_b32 exec_lo, exec_lo, s5
	s_and_saveexec_b32 s1, s2
	s_cbranch_execz .LBB4_100
.LBB4_111:                              ;   in Loop: Header=BB4_34 Depth=1
	v_bfe_u32 v1, v65, 16, 1
	v_cmp_o_f32_e32 vcc_lo, v65, v65
	s_delay_alu instid0(VALU_DEP_2) | instskip(NEXT) | instid1(VALU_DEP_1)
	v_add3_u32 v1, v65, v1, 0x7fff
	v_lshrrev_b32_e32 v1, 16, v1
	s_delay_alu instid0(VALU_DEP_1)
	v_cndmask_b32_e32 v1, 0x7fc0, v1, vcc_lo
	v_add_co_u32 v6, vcc_lo, v61, s8
	v_add_co_ci_u32_e32 v7, vcc_lo, s9, v62, vcc_lo
	global_store_b16 v[6:7], v1, off
	s_or_b32 exec_lo, exec_lo, s1
	s_and_saveexec_b32 s1, s3
	s_cbranch_execz .LBB4_101
.LBB4_112:                              ;   in Loop: Header=BB4_34 Depth=1
	v_bfe_u32 v1, v5, 16, 1
	v_cmp_o_f32_e32 vcc_lo, v5, v5
	s_delay_alu instid0(VALU_DEP_2) | instskip(NEXT) | instid1(VALU_DEP_1)
	v_add3_u32 v1, v5, v1, 0x7fff
	v_lshrrev_b32_e32 v1, 16, v1
	s_delay_alu instid0(VALU_DEP_1)
	v_cndmask_b32_e32 v1, 0x7fc0, v1, vcc_lo
	v_add_co_u32 v4, vcc_lo, v48, s8
	v_add_co_ci_u32_e32 v5, vcc_lo, s9, v49, vcc_lo
	global_store_b16 v[4:5], v1, off
	s_or_b32 exec_lo, exec_lo, s1
	s_and_saveexec_b32 s1, s4
	s_cbranch_execz .LBB4_33
.LBB4_113:                              ;   in Loop: Header=BB4_34 Depth=1
	v_bfe_u32 v1, v3, 16, 1
	v_cmp_o_f32_e32 vcc_lo, v3, v3
	s_delay_alu instid0(VALU_DEP_2) | instskip(NEXT) | instid1(VALU_DEP_1)
	v_add3_u32 v1, v3, v1, 0x7fff
	v_lshrrev_b32_e32 v1, 16, v1
	s_delay_alu instid0(VALU_DEP_1)
	v_cndmask_b32_e32 v1, 0x7fc0, v1, vcc_lo
	v_add_co_u32 v3, vcc_lo, v35, s8
	v_add_co_ci_u32_e32 v4, vcc_lo, s9, v36, vcc_lo
	global_store_b16 v[3:4], v1, off
	s_branch .LBB4_33
.LBB4_114:                              ;   in Loop: Header=BB4_34 Depth=1
	v_add_co_u32 v70, vcc_lo, v14, s8
	v_add_co_ci_u32_e32 v71, vcc_lo, s9, v15, vcc_lo
	global_store_b16 v[70:71], v10, off
	s_or_b32 exec_lo, exec_lo, s5
	s_and_saveexec_b32 s5, s2
	s_cbranch_execz .LBB4_86
.LBB4_115:                              ;   in Loop: Header=BB4_34 Depth=1
	v_add_co_u32 v70, vcc_lo, v55, s8
	v_add_co_ci_u32_e32 v71, vcc_lo, s9, v56, vcc_lo
	global_store_d16_hi_b16 v[70:71], v10, off
	s_or_b32 exec_lo, exec_lo, s5
	s_and_saveexec_b32 s5, s3
	s_cbranch_execz .LBB4_87
.LBB4_116:                              ;   in Loop: Header=BB4_34 Depth=1
	v_add_co_u32 v70, vcc_lo, v41, s8
	v_add_co_ci_u32_e32 v71, vcc_lo, s9, v42, vcc_lo
	global_store_b16 v[70:71], v9, off
	s_or_b32 exec_lo, exec_lo, s5
	s_and_saveexec_b32 s5, s4
	s_cbranch_execnz .LBB4_88
	s_branch .LBB4_89
.LBB4_117:
	s_nop 0
	s_sendmsg sendmsg(MSG_DEALLOC_VGPRS)
	s_endpgm
	.section	.rodata,"a",@progbits
	.p2align	6, 0x0
	.amdhsa_kernel _ZN2at6native12_GLOBAL__N_125multi_tensor_apply_kernelINS1_32FusedOptimizerTensorListMetadataILi5EEENS1_20FusedAdamMathFunctorIN3c108BFloat16ELi5ELNS0_9ADAM_MODEE1ELb1EEEJPKfdddddbSB_SB_EEEvT_T0_DpT1_
		.amdhsa_group_segment_fixed_size 0
		.amdhsa_private_segment_fixed_size 0
		.amdhsa_kernarg_size 3624
		.amdhsa_user_sgpr_count 15
		.amdhsa_user_sgpr_dispatch_ptr 0
		.amdhsa_user_sgpr_queue_ptr 0
		.amdhsa_user_sgpr_kernarg_segment_ptr 1
		.amdhsa_user_sgpr_dispatch_id 0
		.amdhsa_user_sgpr_private_segment_size 0
		.amdhsa_wavefront_size32 1
		.amdhsa_uses_dynamic_stack 0
		.amdhsa_enable_private_segment 0
		.amdhsa_system_sgpr_workgroup_id_x 1
		.amdhsa_system_sgpr_workgroup_id_y 0
		.amdhsa_system_sgpr_workgroup_id_z 0
		.amdhsa_system_sgpr_workgroup_info 0
		.amdhsa_system_vgpr_workitem_id 0
		.amdhsa_next_free_vgpr 79
		.amdhsa_next_free_sgpr 29
		.amdhsa_reserve_vcc 1
		.amdhsa_float_round_mode_32 0
		.amdhsa_float_round_mode_16_64 0
		.amdhsa_float_denorm_mode_32 3
		.amdhsa_float_denorm_mode_16_64 3
		.amdhsa_dx10_clamp 1
		.amdhsa_ieee_mode 1
		.amdhsa_fp16_overflow 0
		.amdhsa_workgroup_processor_mode 1
		.amdhsa_memory_ordered 1
		.amdhsa_forward_progress 0
		.amdhsa_shared_vgpr_count 0
		.amdhsa_exception_fp_ieee_invalid_op 0
		.amdhsa_exception_fp_denorm_src 0
		.amdhsa_exception_fp_ieee_div_zero 0
		.amdhsa_exception_fp_ieee_overflow 0
		.amdhsa_exception_fp_ieee_underflow 0
		.amdhsa_exception_fp_ieee_inexact 0
		.amdhsa_exception_int_div_zero 0
	.end_amdhsa_kernel
	.section	.text._ZN2at6native12_GLOBAL__N_125multi_tensor_apply_kernelINS1_32FusedOptimizerTensorListMetadataILi5EEENS1_20FusedAdamMathFunctorIN3c108BFloat16ELi5ELNS0_9ADAM_MODEE1ELb1EEEJPKfdddddbSB_SB_EEEvT_T0_DpT1_,"axG",@progbits,_ZN2at6native12_GLOBAL__N_125multi_tensor_apply_kernelINS1_32FusedOptimizerTensorListMetadataILi5EEENS1_20FusedAdamMathFunctorIN3c108BFloat16ELi5ELNS0_9ADAM_MODEE1ELb1EEEJPKfdddddbSB_SB_EEEvT_T0_DpT1_,comdat
.Lfunc_end4:
	.size	_ZN2at6native12_GLOBAL__N_125multi_tensor_apply_kernelINS1_32FusedOptimizerTensorListMetadataILi5EEENS1_20FusedAdamMathFunctorIN3c108BFloat16ELi5ELNS0_9ADAM_MODEE1ELb1EEEJPKfdddddbSB_SB_EEEvT_T0_DpT1_, .Lfunc_end4-_ZN2at6native12_GLOBAL__N_125multi_tensor_apply_kernelINS1_32FusedOptimizerTensorListMetadataILi5EEENS1_20FusedAdamMathFunctorIN3c108BFloat16ELi5ELNS0_9ADAM_MODEE1ELb1EEEJPKfdddddbSB_SB_EEEvT_T0_DpT1_
                                        ; -- End function
	.section	.AMDGPU.csdata,"",@progbits
; Kernel info:
; codeLenInByte = 12596
; NumSgprs: 31
; NumVgprs: 79
; ScratchSize: 0
; MemoryBound: 0
; FloatMode: 240
; IeeeMode: 1
; LDSByteSize: 0 bytes/workgroup (compile time only)
; SGPRBlocks: 3
; VGPRBlocks: 9
; NumSGPRsForWavesPerEU: 31
; NumVGPRsForWavesPerEU: 79
; Occupancy: 16
; WaveLimiterHint : 0
; COMPUTE_PGM_RSRC2:SCRATCH_EN: 0
; COMPUTE_PGM_RSRC2:USER_SGPR: 15
; COMPUTE_PGM_RSRC2:TRAP_HANDLER: 0
; COMPUTE_PGM_RSRC2:TGID_X_EN: 1
; COMPUTE_PGM_RSRC2:TGID_Y_EN: 0
; COMPUTE_PGM_RSRC2:TGID_Z_EN: 0
; COMPUTE_PGM_RSRC2:TIDIG_COMP_CNT: 0
	.text
	.p2alignl 7, 3214868480
	.fill 96, 4, 3214868480
	.type	__hip_cuid_9104422ba49a5bd,@object ; @__hip_cuid_9104422ba49a5bd
	.section	.bss,"aw",@nobits
	.globl	__hip_cuid_9104422ba49a5bd
__hip_cuid_9104422ba49a5bd:
	.byte	0                               ; 0x0
	.size	__hip_cuid_9104422ba49a5bd, 1

	.ident	"AMD clang version 19.0.0git (https://github.com/RadeonOpenCompute/llvm-project roc-6.4.0 25133 c7fe45cf4b819c5991fe208aaa96edf142730f1d)"
	.section	".note.GNU-stack","",@progbits
	.addrsig
	.addrsig_sym __hip_cuid_9104422ba49a5bd
	.amdgpu_metadata
---
amdhsa.kernels:
  - .args:
      - .offset:         0
        .size:           3288
        .value_kind:     by_value
      - .offset:         3288
        .size:           1
        .value_kind:     by_value
      - .address_space:  global
        .offset:         3296
        .size:           8
        .value_kind:     global_buffer
      - .offset:         3304
        .size:           8
        .value_kind:     by_value
      - .offset:         3312
        .size:           8
        .value_kind:     by_value
      - .offset:         3320
        .size:           8
        .value_kind:     by_value
      - .offset:         3328
        .size:           8
        .value_kind:     by_value
      - .offset:         3336
        .size:           8
        .value_kind:     by_value
      - .offset:         3344
        .size:           1
        .value_kind:     by_value
      - .address_space:  global
        .offset:         3352
        .size:           8
        .value_kind:     global_buffer
      - .address_space:  global
        .offset:         3360
        .size:           8
        .value_kind:     global_buffer
      - .offset:         3368
        .size:           4
        .value_kind:     hidden_block_count_x
      - .offset:         3372
        .size:           4
        .value_kind:     hidden_block_count_y
      - .offset:         3376
        .size:           4
        .value_kind:     hidden_block_count_z
      - .offset:         3380
        .size:           2
        .value_kind:     hidden_group_size_x
      - .offset:         3382
        .size:           2
        .value_kind:     hidden_group_size_y
      - .offset:         3384
        .size:           2
        .value_kind:     hidden_group_size_z
      - .offset:         3386
        .size:           2
        .value_kind:     hidden_remainder_x
      - .offset:         3388
        .size:           2
        .value_kind:     hidden_remainder_y
      - .offset:         3390
        .size:           2
        .value_kind:     hidden_remainder_z
      - .offset:         3408
        .size:           8
        .value_kind:     hidden_global_offset_x
      - .offset:         3416
        .size:           8
        .value_kind:     hidden_global_offset_y
      - .offset:         3424
        .size:           8
        .value_kind:     hidden_global_offset_z
      - .offset:         3432
        .size:           2
        .value_kind:     hidden_grid_dims
    .group_segment_fixed_size: 0
    .kernarg_segment_align: 8
    .kernarg_segment_size: 3624
    .language:       OpenCL C
    .language_version:
      - 2
      - 0
    .max_flat_workgroup_size: 512
    .name:           _ZN2at6native12_GLOBAL__N_125multi_tensor_apply_kernelINS1_32FusedOptimizerTensorListMetadataILi5EEENS1_22FusedAdamMathFunctorMPIfffN3c108BFloat16ES7_S7_Li5ELNS0_9ADAM_MODEE1ELb1EEEJPKfdddddbSB_SB_EEEvT_T0_DpT1_
    .private_segment_fixed_size: 0
    .sgpr_count:     107
    .sgpr_spill_count: 11
    .symbol:         _ZN2at6native12_GLOBAL__N_125multi_tensor_apply_kernelINS1_32FusedOptimizerTensorListMetadataILi5EEENS1_22FusedAdamMathFunctorMPIfffN3c108BFloat16ES7_S7_Li5ELNS0_9ADAM_MODEE1ELb1EEEJPKfdddddbSB_SB_EEEvT_T0_DpT1_.kd
    .uniform_work_group_size: 1
    .uses_dynamic_stack: false
    .vgpr_count:     83
    .vgpr_spill_count: 0
    .wavefront_size: 32
    .workgroup_processor_mode: 1
  - .args:
      - .offset:         0
        .size:           3288
        .value_kind:     by_value
      - .offset:         3288
        .size:           1
        .value_kind:     by_value
      - .address_space:  global
        .offset:         3296
        .size:           8
        .value_kind:     global_buffer
      - .offset:         3304
        .size:           8
        .value_kind:     by_value
      - .offset:         3312
        .size:           8
        .value_kind:     by_value
      - .offset:         3320
        .size:           8
        .value_kind:     by_value
      - .offset:         3328
        .size:           8
        .value_kind:     by_value
      - .offset:         3336
        .size:           8
        .value_kind:     by_value
      - .offset:         3344
        .size:           1
        .value_kind:     by_value
      - .address_space:  global
        .offset:         3352
        .size:           8
        .value_kind:     global_buffer
      - .address_space:  global
        .offset:         3360
        .size:           8
        .value_kind:     global_buffer
      - .offset:         3368
        .size:           4
        .value_kind:     hidden_block_count_x
      - .offset:         3372
        .size:           4
        .value_kind:     hidden_block_count_y
      - .offset:         3376
        .size:           4
        .value_kind:     hidden_block_count_z
      - .offset:         3380
        .size:           2
        .value_kind:     hidden_group_size_x
      - .offset:         3382
        .size:           2
        .value_kind:     hidden_group_size_y
      - .offset:         3384
        .size:           2
        .value_kind:     hidden_group_size_z
      - .offset:         3386
        .size:           2
        .value_kind:     hidden_remainder_x
      - .offset:         3388
        .size:           2
        .value_kind:     hidden_remainder_y
      - .offset:         3390
        .size:           2
        .value_kind:     hidden_remainder_z
      - .offset:         3408
        .size:           8
        .value_kind:     hidden_global_offset_x
      - .offset:         3416
        .size:           8
        .value_kind:     hidden_global_offset_y
      - .offset:         3424
        .size:           8
        .value_kind:     hidden_global_offset_z
      - .offset:         3432
        .size:           2
        .value_kind:     hidden_grid_dims
    .group_segment_fixed_size: 0
    .kernarg_segment_align: 8
    .kernarg_segment_size: 3624
    .language:       OpenCL C
    .language_version:
      - 2
      - 0
    .max_flat_workgroup_size: 512
    .name:           _ZN2at6native12_GLOBAL__N_125multi_tensor_apply_kernelINS1_32FusedOptimizerTensorListMetadataILi5EEENS1_20FusedAdamMathFunctorIdLi5ELNS0_9ADAM_MODEE1ELb1EEEJPKfdddddbS9_S9_EEEvT_T0_DpT1_
    .private_segment_fixed_size: 0
    .sgpr_count:     93
    .sgpr_spill_count: 0
    .symbol:         _ZN2at6native12_GLOBAL__N_125multi_tensor_apply_kernelINS1_32FusedOptimizerTensorListMetadataILi5EEENS1_20FusedAdamMathFunctorIdLi5ELNS0_9ADAM_MODEE1ELb1EEEJPKfdddddbS9_S9_EEEvT_T0_DpT1_.kd
    .uniform_work_group_size: 1
    .uses_dynamic_stack: false
    .vgpr_count:     106
    .vgpr_spill_count: 0
    .wavefront_size: 32
    .workgroup_processor_mode: 1
  - .args:
      - .offset:         0
        .size:           3288
        .value_kind:     by_value
      - .offset:         3288
        .size:           1
        .value_kind:     by_value
      - .address_space:  global
        .offset:         3296
        .size:           8
        .value_kind:     global_buffer
      - .offset:         3304
        .size:           8
        .value_kind:     by_value
      - .offset:         3312
        .size:           8
        .value_kind:     by_value
      - .offset:         3320
        .size:           8
        .value_kind:     by_value
      - .offset:         3328
        .size:           8
        .value_kind:     by_value
      - .offset:         3336
        .size:           8
        .value_kind:     by_value
      - .offset:         3344
        .size:           1
        .value_kind:     by_value
      - .address_space:  global
        .offset:         3352
        .size:           8
        .value_kind:     global_buffer
      - .address_space:  global
        .offset:         3360
        .size:           8
        .value_kind:     global_buffer
      - .offset:         3368
        .size:           4
        .value_kind:     hidden_block_count_x
      - .offset:         3372
        .size:           4
        .value_kind:     hidden_block_count_y
      - .offset:         3376
        .size:           4
        .value_kind:     hidden_block_count_z
      - .offset:         3380
        .size:           2
        .value_kind:     hidden_group_size_x
      - .offset:         3382
        .size:           2
        .value_kind:     hidden_group_size_y
      - .offset:         3384
        .size:           2
        .value_kind:     hidden_group_size_z
      - .offset:         3386
        .size:           2
        .value_kind:     hidden_remainder_x
      - .offset:         3388
        .size:           2
        .value_kind:     hidden_remainder_y
      - .offset:         3390
        .size:           2
        .value_kind:     hidden_remainder_z
      - .offset:         3408
        .size:           8
        .value_kind:     hidden_global_offset_x
      - .offset:         3416
        .size:           8
        .value_kind:     hidden_global_offset_y
      - .offset:         3424
        .size:           8
        .value_kind:     hidden_global_offset_z
      - .offset:         3432
        .size:           2
        .value_kind:     hidden_grid_dims
    .group_segment_fixed_size: 0
    .kernarg_segment_align: 8
    .kernarg_segment_size: 3624
    .language:       OpenCL C
    .language_version:
      - 2
      - 0
    .max_flat_workgroup_size: 512
    .name:           _ZN2at6native12_GLOBAL__N_125multi_tensor_apply_kernelINS1_32FusedOptimizerTensorListMetadataILi5EEENS1_20FusedAdamMathFunctorIfLi5ELNS0_9ADAM_MODEE1ELb1EEEJPKfdddddbS9_S9_EEEvT_T0_DpT1_
    .private_segment_fixed_size: 0
    .sgpr_count:     41
    .sgpr_spill_count: 0
    .symbol:         _ZN2at6native12_GLOBAL__N_125multi_tensor_apply_kernelINS1_32FusedOptimizerTensorListMetadataILi5EEENS1_20FusedAdamMathFunctorIfLi5ELNS0_9ADAM_MODEE1ELb1EEEJPKfdddddbS9_S9_EEEvT_T0_DpT1_.kd
    .uniform_work_group_size: 1
    .uses_dynamic_stack: false
    .vgpr_count:     81
    .vgpr_spill_count: 0
    .wavefront_size: 32
    .workgroup_processor_mode: 1
  - .args:
      - .offset:         0
        .size:           3288
        .value_kind:     by_value
      - .offset:         3288
        .size:           1
        .value_kind:     by_value
      - .address_space:  global
        .offset:         3296
        .size:           8
        .value_kind:     global_buffer
      - .offset:         3304
        .size:           8
        .value_kind:     by_value
      - .offset:         3312
        .size:           8
        .value_kind:     by_value
      - .offset:         3320
        .size:           8
        .value_kind:     by_value
      - .offset:         3328
        .size:           8
        .value_kind:     by_value
      - .offset:         3336
        .size:           8
        .value_kind:     by_value
      - .offset:         3344
        .size:           1
        .value_kind:     by_value
      - .address_space:  global
        .offset:         3352
        .size:           8
        .value_kind:     global_buffer
      - .address_space:  global
        .offset:         3360
        .size:           8
        .value_kind:     global_buffer
      - .offset:         3368
        .size:           4
        .value_kind:     hidden_block_count_x
      - .offset:         3372
        .size:           4
        .value_kind:     hidden_block_count_y
      - .offset:         3376
        .size:           4
        .value_kind:     hidden_block_count_z
      - .offset:         3380
        .size:           2
        .value_kind:     hidden_group_size_x
      - .offset:         3382
        .size:           2
        .value_kind:     hidden_group_size_y
      - .offset:         3384
        .size:           2
        .value_kind:     hidden_group_size_z
      - .offset:         3386
        .size:           2
        .value_kind:     hidden_remainder_x
      - .offset:         3388
        .size:           2
        .value_kind:     hidden_remainder_y
      - .offset:         3390
        .size:           2
        .value_kind:     hidden_remainder_z
      - .offset:         3408
        .size:           8
        .value_kind:     hidden_global_offset_x
      - .offset:         3416
        .size:           8
        .value_kind:     hidden_global_offset_y
      - .offset:         3424
        .size:           8
        .value_kind:     hidden_global_offset_z
      - .offset:         3432
        .size:           2
        .value_kind:     hidden_grid_dims
    .group_segment_fixed_size: 0
    .kernarg_segment_align: 8
    .kernarg_segment_size: 3624
    .language:       OpenCL C
    .language_version:
      - 2
      - 0
    .max_flat_workgroup_size: 512
    .name:           _ZN2at6native12_GLOBAL__N_125multi_tensor_apply_kernelINS1_32FusedOptimizerTensorListMetadataILi5EEENS1_20FusedAdamMathFunctorIN3c104HalfELi5ELNS0_9ADAM_MODEE1ELb1EEEJPKfdddddbSB_SB_EEEvT_T0_DpT1_
    .private_segment_fixed_size: 0
    .sgpr_count:     41
    .sgpr_spill_count: 0
    .symbol:         _ZN2at6native12_GLOBAL__N_125multi_tensor_apply_kernelINS1_32FusedOptimizerTensorListMetadataILi5EEENS1_20FusedAdamMathFunctorIN3c104HalfELi5ELNS0_9ADAM_MODEE1ELb1EEEJPKfdddddbSB_SB_EEEvT_T0_DpT1_.kd
    .uniform_work_group_size: 1
    .uses_dynamic_stack: false
    .vgpr_count:     80
    .vgpr_spill_count: 0
    .wavefront_size: 32
    .workgroup_processor_mode: 1
  - .args:
      - .offset:         0
        .size:           3288
        .value_kind:     by_value
      - .offset:         3288
        .size:           1
        .value_kind:     by_value
      - .address_space:  global
        .offset:         3296
        .size:           8
        .value_kind:     global_buffer
      - .offset:         3304
        .size:           8
        .value_kind:     by_value
      - .offset:         3312
        .size:           8
        .value_kind:     by_value
      - .offset:         3320
        .size:           8
        .value_kind:     by_value
      - .offset:         3328
        .size:           8
        .value_kind:     by_value
      - .offset:         3336
        .size:           8
        .value_kind:     by_value
      - .offset:         3344
        .size:           1
        .value_kind:     by_value
      - .address_space:  global
        .offset:         3352
        .size:           8
        .value_kind:     global_buffer
      - .address_space:  global
        .offset:         3360
        .size:           8
        .value_kind:     global_buffer
      - .offset:         3368
        .size:           4
        .value_kind:     hidden_block_count_x
      - .offset:         3372
        .size:           4
        .value_kind:     hidden_block_count_y
      - .offset:         3376
        .size:           4
        .value_kind:     hidden_block_count_z
      - .offset:         3380
        .size:           2
        .value_kind:     hidden_group_size_x
      - .offset:         3382
        .size:           2
        .value_kind:     hidden_group_size_y
      - .offset:         3384
        .size:           2
        .value_kind:     hidden_group_size_z
      - .offset:         3386
        .size:           2
        .value_kind:     hidden_remainder_x
      - .offset:         3388
        .size:           2
        .value_kind:     hidden_remainder_y
      - .offset:         3390
        .size:           2
        .value_kind:     hidden_remainder_z
      - .offset:         3408
        .size:           8
        .value_kind:     hidden_global_offset_x
      - .offset:         3416
        .size:           8
        .value_kind:     hidden_global_offset_y
      - .offset:         3424
        .size:           8
        .value_kind:     hidden_global_offset_z
      - .offset:         3432
        .size:           2
        .value_kind:     hidden_grid_dims
    .group_segment_fixed_size: 0
    .kernarg_segment_align: 8
    .kernarg_segment_size: 3624
    .language:       OpenCL C
    .language_version:
      - 2
      - 0
    .max_flat_workgroup_size: 512
    .name:           _ZN2at6native12_GLOBAL__N_125multi_tensor_apply_kernelINS1_32FusedOptimizerTensorListMetadataILi5EEENS1_20FusedAdamMathFunctorIN3c108BFloat16ELi5ELNS0_9ADAM_MODEE1ELb1EEEJPKfdddddbSB_SB_EEEvT_T0_DpT1_
    .private_segment_fixed_size: 0
    .sgpr_count:     31
    .sgpr_spill_count: 0
    .symbol:         _ZN2at6native12_GLOBAL__N_125multi_tensor_apply_kernelINS1_32FusedOptimizerTensorListMetadataILi5EEENS1_20FusedAdamMathFunctorIN3c108BFloat16ELi5ELNS0_9ADAM_MODEE1ELb1EEEJPKfdddddbSB_SB_EEEvT_T0_DpT1_.kd
    .uniform_work_group_size: 1
    .uses_dynamic_stack: false
    .vgpr_count:     79
    .vgpr_spill_count: 0
    .wavefront_size: 32
    .workgroup_processor_mode: 1
amdhsa.target:   amdgcn-amd-amdhsa--gfx1100
amdhsa.version:
  - 1
  - 2
...

	.end_amdgpu_metadata
